;; amdgpu-corpus repo=ROCm/rocFFT kind=compiled arch=gfx1201 opt=O3
	.text
	.amdgcn_target "amdgcn-amd-amdhsa--gfx1201"
	.amdhsa_code_object_version 6
	.protected	bluestein_single_back_len2016_dim1_half_op_CI_CI ; -- Begin function bluestein_single_back_len2016_dim1_half_op_CI_CI
	.globl	bluestein_single_back_len2016_dim1_half_op_CI_CI
	.p2align	8
	.type	bluestein_single_back_len2016_dim1_half_op_CI_CI,@function
bluestein_single_back_len2016_dim1_half_op_CI_CI: ; @bluestein_single_back_len2016_dim1_half_op_CI_CI
; %bb.0:
	s_load_b128 s[16:19], s[0:1], 0x28
	v_mul_u32_u24_e32 v1, 0x24a, v0
	v_mov_b32_e32 v13, 0
	s_mov_b32 s2, exec_lo
	s_delay_alu instid0(VALU_DEP_2) | instskip(NEXT) | instid1(VALU_DEP_1)
	v_lshrrev_b32_e32 v1, 16, v1
	v_lshl_add_u32 v12, ttmp9, 1, v1
	s_wait_kmcnt 0x0
	s_delay_alu instid0(VALU_DEP_1)
	v_cmpx_gt_u64_e64 s[16:17], v[12:13]
	s_cbranch_execz .LBB0_10
; %bb.1:
	s_clause 0x1
	s_load_b128 s[4:7], s[0:1], 0x18
	s_load_b128 s[8:11], s[0:1], 0x0
	v_mul_lo_u16 v2, 0x70, v1
	s_movk_i32 s2, 0xf200
	s_mov_b32 s3, -1
	s_delay_alu instid0(VALU_DEP_1) | instskip(NEXT) | instid1(VALU_DEP_1)
	v_sub_nc_u16 v2, v0, v2
	v_and_b32_e32 v78, 0xffff, v2
	s_wait_kmcnt 0x0
	s_load_b128 s[12:15], s[4:5], 0x0
	s_wait_kmcnt 0x0
	v_mad_co_u64_u32 v[4:5], null, s14, v12, 0
	v_mad_co_u64_u32 v[6:7], null, s12, v78, 0
	s_mul_u64 s[4:5], s[12:13], 0xfc0
	s_mul_u64 s[2:3], s[12:13], s[2:3]
	s_delay_alu instid0(VALU_DEP_1) | instskip(SKIP_4) | instid1(VALU_DEP_4)
	v_dual_mov_b32 v0, v5 :: v_dual_mov_b32 v5, v7
	v_or_b32_e32 v51, 0x700, v78
	v_or_b32_e32 v50, 0x380, v78
	v_add_co_u32 v18, null, 0x150, v78
	v_add_co_u32 v19, null, 0x230, v78
	v_mad_co_u64_u32 v[8:9], null, s12, v51, 0
	s_delay_alu instid0(VALU_DEP_4) | instskip(SKIP_1) | instid1(VALU_DEP_3)
	v_mad_co_u64_u32 v[10:11], null, s12, v50, 0
	v_lshlrev_b32_e32 v3, 2, v78
	v_mov_b32_e32 v7, v9
	v_mad_co_u64_u32 v[13:14], null, s15, v12, v[0:1]
	s_delay_alu instid0(VALU_DEP_4) | instskip(SKIP_1) | instid1(VALU_DEP_4)
	v_mov_b32_e32 v0, v11
	v_mad_co_u64_u32 v[14:15], null, s13, v78, v[5:6]
	v_mad_co_u64_u32 v[15:16], null, s13, v51, v[7:8]
	s_delay_alu instid0(VALU_DEP_3)
	v_mad_co_u64_u32 v[16:17], null, s13, v50, v[0:1]
	v_mov_b32_e32 v5, v13
	s_clause 0x4
	global_load_b32 v75, v3, s[8:9] offset:4928
	global_load_b32 v71, v3, s[8:9] offset:5376
	;; [unrolled: 1-line block ×5, first 2 shown]
	v_mov_b32_e32 v7, v14
	s_clause 0x7
	global_load_b32 v85, v3, s[8:9]
	global_load_b32 v82, v3, s[8:9] offset:448
	global_load_b32 v77, v3, s[8:9] offset:896
	;; [unrolled: 1-line block ×7, first 2 shown]
	v_mov_b32_e32 v9, v15
	v_lshlrev_b64_e32 v[4:5], 2, v[4:5]
	v_mov_b32_e32 v11, v16
	v_lshlrev_b64_e32 v[6:7], 2, v[6:7]
	s_clause 0x2
	global_load_b32 v80, v3, s[8:9] offset:4480
	global_load_b32 v84, v3, s[8:9] offset:4032
	;; [unrolled: 1-line block ×3, first 2 shown]
	v_lshlrev_b64_e32 v[8:9], 2, v[8:9]
	s_clause 0x1
	global_load_b32 v54, v3, s[8:9] offset:7168
	global_load_b32 v52, v3, s[8:9] offset:7616
	v_add_co_u32 v0, vcc_lo, s18, v4
	v_add_co_ci_u32_e32 v13, vcc_lo, s19, v5, vcc_lo
	v_lshlrev_b64_e32 v[4:5], 2, v[10:11]
	s_delay_alu instid0(VALU_DEP_3) | instskip(SKIP_1) | instid1(VALU_DEP_3)
	v_add_co_u32 v6, vcc_lo, v0, v6
	s_wait_alu 0xfffd
	v_add_co_ci_u32_e32 v7, vcc_lo, v13, v7, vcc_lo
	v_add_co_u32 v8, vcc_lo, v0, v8
	s_wait_alu 0xfffd
	v_add_co_ci_u32_e32 v9, vcc_lo, v13, v9, vcc_lo
	;; [unrolled: 3-line block ×3, first 2 shown]
	global_load_b32 v20, v[6:7], off
	v_add_co_u32 v6, vcc_lo, v6, s4
	s_wait_alu 0xfffd
	v_add_co_ci_u32_e32 v7, vcc_lo, s5, v7, vcc_lo
	s_clause 0x1
	global_load_b32 v21, v[8:9], off
	global_load_b32 v22, v[4:5], off
	v_add_co_u32 v4, vcc_lo, v6, s2
	s_wait_alu 0xfffd
	v_add_co_ci_u32_e32 v5, vcc_lo, s3, v7, vcc_lo
	global_load_b32 v23, v[6:7], off
	v_add_co_u32 v17, null, 0x1c0, v78
	global_load_b32 v24, v[4:5], off
	v_add_co_u32 v6, vcc_lo, v4, s4
	s_wait_alu 0xfffd
	v_add_co_ci_u32_e32 v7, vcc_lo, s5, v5, vcc_lo
	s_delay_alu instid0(VALU_DEP_2) | instskip(SKIP_1) | instid1(VALU_DEP_2)
	v_add_co_u32 v8, vcc_lo, v6, s2
	s_wait_alu 0xfffd
	v_add_co_ci_u32_e32 v9, vcc_lo, s3, v7, vcc_lo
	global_load_b32 v25, v[6:7], off
	v_add_co_u32 v4, vcc_lo, v8, s4
	global_load_b32 v26, v[8:9], off
	s_wait_alu 0xfffd
	v_add_co_ci_u32_e32 v5, vcc_lo, s5, v9, vcc_lo
	v_add_co_u32 v6, vcc_lo, v4, s2
	s_wait_alu 0xfffd
	s_delay_alu instid0(VALU_DEP_2) | instskip(NEXT) | instid1(VALU_DEP_2)
	v_add_co_ci_u32_e32 v7, vcc_lo, s3, v5, vcc_lo
	v_add_co_u32 v10, vcc_lo, v6, s4
	global_load_b32 v27, v[4:5], off
	s_wait_alu 0xfffd
	v_add_co_ci_u32_e32 v11, vcc_lo, s5, v7, vcc_lo
	v_add_co_u32 v8, vcc_lo, v10, s2
	global_load_b32 v28, v[6:7], off
	s_wait_alu 0xfffd
	;; [unrolled: 4-line block ×6, first 2 shown]
	v_add_co_ci_u32_e32 v11, vcc_lo, s3, v7, vcc_lo
	v_add_co_u32 v8, vcc_lo, v10, s4
	global_load_b32 v33, v[6:7], off
	global_load_b32 v34, v[10:11], off
	s_wait_alu 0xfffd
	v_add_co_ci_u32_e32 v9, vcc_lo, s5, v11, vcc_lo
	v_add_co_u32 v15, vcc_lo, v8, s2
	v_add_co_u32 v14, null, 0x70, v78
	s_wait_alu 0xfffd
	s_delay_alu instid0(VALU_DEP_3) | instskip(SKIP_1) | instid1(VALU_DEP_2)
	v_add_co_ci_u32_e32 v16, vcc_lo, s3, v9, vcc_lo
	v_add_co_u32 v13, null, 0xe0, v78
	v_mad_co_u64_u32 v[4:5], null, 0x1180, s12, v[15:16]
	s_delay_alu instid0(VALU_DEP_1) | instskip(NEXT) | instid1(VALU_DEP_1)
	v_mov_b32_e32 v0, v5
	v_mad_co_u64_u32 v[5:6], null, 0x1180, s13, v[0:1]
	global_load_b32 v35, v[8:9], off
	global_load_b32 v15, v[15:16], off
	;; [unrolled: 1-line block ×3, first 2 shown]
	v_and_b32_e32 v0, 1, v1
	s_load_b128 s[4:7], s[6:7], 0x0
	v_and_b32_e32 v16, 1, v78
	s_delay_alu instid0(VALU_DEP_2) | instskip(NEXT) | instid1(VALU_DEP_2)
	v_cmp_eq_u32_e32 vcc_lo, 1, v0
	v_lshlrev_b32_e32 v47, 2, v16
	s_wait_alu 0xfffd
	v_cndmask_b32_e64 v0, 0, 0x7e0, vcc_lo
	v_cmp_gt_u16_e32 vcc_lo, 0x60, v2
	s_delay_alu instid0(VALU_DEP_2) | instskip(SKIP_1) | instid1(VALU_DEP_2)
	v_lshlrev_b32_e32 v100, 2, v0
	v_lshlrev_b32_e32 v0, 1, v78
	v_add_nc_u32_e32 v61, v100, v3
	v_lshl_add_u32 v91, v78, 3, v100
	v_lshl_add_u32 v94, v14, 3, v100
	v_lshl_add_u32 v93, v13, 3, v100
	v_lshl_add_u32 v92, v18, 3, v100
	v_add_nc_u32_e32 v4, 0x1000, v61
	v_add_nc_u32_e32 v7, 0x200, v61
	;; [unrolled: 1-line block ×8, first 2 shown]
	v_lshl_add_u32 v97, v17, 3, v100
	v_lshl_add_u32 v95, v19, 3, v100
	;; [unrolled: 1-line block ×3, first 2 shown]
	s_wait_loadcnt 0x1e
	v_lshrrev_b32_e32 v89, 16, v85
	s_wait_loadcnt 0x1d
	v_lshrrev_b32_e32 v87, 16, v82
	;; [unrolled: 2-line block ×3, first 2 shown]
	v_lshrrev_b32_e32 v81, 16, v75
	s_wait_loadcnt 0x1b
	v_lshrrev_b32_e32 v79, 16, v73
	v_lshrrev_b32_e32 v76, 16, v71
	s_wait_loadcnt 0x1a
	v_lshrrev_b32_e32 v74, 16, v69
	;; [unrolled: 3-line block ×4, first 2 shown]
	s_wait_loadcnt 0x15
	v_lshrrev_b32_e32 v88, 16, v84
	s_wait_loadcnt 0x14
	v_lshrrev_b32_e32 v57, 16, v53
	;; [unrolled: 2-line block ×3, first 2 shown]
	v_lshrrev_b32_e32 v66, 16, v60
	v_lshrrev_b32_e32 v64, 16, v58
	;; [unrolled: 1-line block ×3, first 2 shown]
	s_wait_loadcnt 0x12
	v_lshrrev_b32_e32 v55, 16, v52
	s_wait_loadcnt 0x11
	v_lshrrev_b32_e32 v1, 16, v20
	v_mul_f16_e32 v37, v89, v20
	s_wait_loadcnt 0x10
	v_lshrrev_b32_e32 v38, 16, v21
	v_mul_f16_e32 v39, v59, v21
	;; [unrolled: 3-line block ×3, first 2 shown]
	v_mul_f16_e32 v42, v89, v1
	v_fma_f16 v1, v85, v1, -v37
	s_wait_loadcnt 0xe
	v_lshrrev_b32_e32 v37, 16, v23
	v_mul_f16_e32 v43, v88, v23
	v_mul_f16_e32 v44, v59, v38
	v_fma_f16 v38, v54, v38, -v39
	v_mul_f16_e32 v39, v57, v40
	v_fma_f16 v40, v53, v40, -v41
	v_fmac_f16_e32 v42, v85, v20
	v_mul_f16_e32 v20, v88, v37
	s_wait_loadcnt 0xd
	v_lshrrev_b32_e32 v41, 16, v24
	v_fma_f16 v37, v84, v37, -v43
	v_mul_f16_e32 v43, v87, v24
	v_fmac_f16_e32 v44, v54, v21
	v_fmac_f16_e32 v20, v84, v23
	v_mul_f16_e32 v21, v87, v41
	s_wait_loadcnt 0xc
	v_lshrrev_b32_e32 v23, 16, v25
	v_fmac_f16_e32 v39, v53, v22
	v_fma_f16 v22, v82, v41, -v43
	v_mul_f16_e32 v41, v86, v25
	v_pack_b32_f16 v20, v20, v37
	v_fmac_f16_e32 v21, v82, v24
	v_mul_f16_e32 v24, v86, v23
	s_wait_loadcnt 0xb
	v_lshrrev_b32_e32 v37, 16, v26
	v_pack_b32_f16 v1, v42, v1
	v_pack_b32_f16 v39, v39, v40
	v_fma_f16 v23, v80, v23, -v41
	v_mul_f16_e32 v40, v83, v26
	ds_store_b32 v61, v20 offset:4032
	v_pack_b32_f16 v20, v21, v22
	v_fmac_f16_e32 v24, v80, v25
	v_mul_f16_e32 v21, v83, v37
	s_wait_loadcnt 0xa
	v_lshrrev_b32_e32 v25, 16, v27
	v_fma_f16 v22, v77, v37, -v40
	v_mul_f16_e32 v37, v81, v27
	ds_store_2addr_b32 v61, v1, v20 offset1:112
	v_pack_b32_f16 v1, v24, v23
	v_fmac_f16_e32 v21, v77, v26
	v_mul_f16_e32 v20, v81, v25
	s_wait_loadcnt 0x9
	v_lshrrev_b32_e32 v24, 16, v28
	v_fma_f16 v23, v75, v25, -v37
	v_mul_f16_e32 v25, v79, v28
	v_pack_b32_f16 v21, v21, v22
	v_fmac_f16_e32 v20, v75, v27
	v_mul_f16_e32 v22, v79, v24
	s_wait_loadcnt 0x8
	v_lshrrev_b32_e32 v26, 16, v29
	v_mul_f16_e32 v27, v76, v29
	v_fma_f16 v24, v73, v24, -v25
	v_pack_b32_f16 v20, v20, v23
	v_fmac_f16_e32 v22, v73, v28
	v_mul_f16_e32 v23, v76, v26
	v_fma_f16 v25, v71, v26, -v27
	s_wait_loadcnt 0x7
	v_lshrrev_b32_e32 v26, 16, v30
	v_mul_f16_e32 v27, v74, v30
	ds_store_2addr_b32 v4, v1, v20 offset0:96 offset1:208
	v_pack_b32_f16 v1, v22, v24
	v_fmac_f16_e32 v23, v71, v29
	v_mul_f16_e32 v20, v74, v26
	s_wait_loadcnt 0x6
	v_lshrrev_b32_e32 v24, 16, v31
	v_fma_f16 v22, v69, v26, -v27
	v_mul_f16_e32 v26, v72, v31
	ds_store_2addr_b32 v7, v21, v1 offset0:96 offset1:208
	v_pack_b32_f16 v1, v23, v25
	v_fmac_f16_e32 v20, v69, v30
	v_mul_f16_e32 v21, v72, v24
	s_wait_loadcnt 0x5
	v_lshrrev_b32_e32 v23, 16, v32
	v_mul_f16_e32 v25, v70, v32
	v_fma_f16 v24, v67, v24, -v26
	v_pack_b32_f16 v20, v20, v22
	v_fmac_f16_e32 v21, v67, v31
	v_mul_f16_e32 v22, v70, v23
	v_fma_f16 v23, v65, v23, -v25
	s_wait_loadcnt 0x4
	v_lshrrev_b32_e32 v25, 16, v33
	v_mul_f16_e32 v26, v68, v33
	v_pack_b32_f16 v21, v21, v24
	v_fmac_f16_e32 v22, v65, v32
	s_wait_loadcnt 0x3
	v_lshrrev_b32_e32 v24, 16, v34
	v_mul_f16_e32 v27, v68, v25
	v_fma_f16 v25, v63, v25, -v26
	v_mul_f16_e32 v26, v66, v34
	v_pack_b32_f16 v22, v22, v23
	v_mul_f16_e32 v23, v66, v24
	v_fmac_f16_e32 v27, v63, v33
	v_pack_b32_f16 v38, v44, v38
	v_fma_f16 v24, v60, v24, -v26
	ds_store_b32 v61, v39 offset:3584
	v_fmac_f16_e32 v23, v60, v34
	s_wait_loadcnt 0x2
	v_lshrrev_b32_e32 v28, 16, v35
	v_mul_f16_e32 v26, v64, v35
	s_wait_loadcnt 0x1
	v_lshrrev_b32_e32 v29, 16, v15
	s_wait_loadcnt 0x0
	v_lshrrev_b32_e32 v31, 16, v36
	v_mul_f16_e32 v33, v55, v36
	v_mul_f16_e32 v30, v64, v28
	v_fma_f16 v26, v58, v28, -v26
	v_mul_f16_e32 v28, v62, v15
	v_mul_f16_e32 v32, v62, v29
	v_mul_f16_e32 v34, v55, v31
	v_fmac_f16_e32 v30, v58, v35
	v_pack_b32_f16 v25, v27, v25
	v_fma_f16 v28, v56, v29, -v28
	v_fmac_f16_e32 v32, v56, v15
	v_fma_f16 v15, v52, v31, -v33
	v_fmac_f16_e32 v34, v52, v36
	v_pack_b32_f16 v23, v23, v24
	v_pack_b32_f16 v24, v30, v26
	;; [unrolled: 1-line block ×3, first 2 shown]
	s_delay_alu instid0(VALU_DEP_4)
	v_pack_b32_f16 v15, v34, v15
	ds_store_2addr_b32 v10, v1, v21 offset0:64 offset1:176
	ds_store_2addr_b32 v6, v20, v22 offset0:64 offset1:176
	;; [unrolled: 1-line block ×4, first 2 shown]
	ds_store_2addr_b32 v8, v38, v15 offset1:112
	global_wb scope:SCOPE_SE
	s_wait_dscnt 0x0
	s_wait_kmcnt 0x0
	s_barrier_signal -1
	s_barrier_wait -1
	global_inv scope:SCOPE_SE
	ds_load_2addr_b32 v[20:21], v61 offset1:112
	ds_load_2addr_b32 v[22:23], v5 offset0:128 offset1:240
	ds_load_2addr_b32 v[24:25], v4 offset0:96 offset1:208
	;; [unrolled: 1-line block ×7, first 2 shown]
	ds_load_2addr_b32 v[36:37], v8 offset1:112
	v_add_nc_u32_e32 v1, 0x540, v0
	v_add_nc_u32_e32 v15, 0x620, v0
	global_wb scope:SCOPE_SE
	s_wait_dscnt 0x0
	s_barrier_signal -1
	s_barrier_wait -1
	v_lshl_add_u32 v99, v1, 2, v100
	v_lshl_add_u32 v98, v15, 2, v100
	global_inv scope:SCOPE_SE
	v_pk_add_f16 v38, v20, v23 neg_lo:[0,1] neg_hi:[0,1]
	v_pk_add_f16 v24, v21, v24 neg_lo:[0,1] neg_hi:[0,1]
	;; [unrolled: 1-line block ×9, first 2 shown]
	v_pk_fma_f16 v37, v20, 2.0, v38 op_sel_hi:[1,0,1] neg_lo:[0,0,1] neg_hi:[0,0,1]
	v_pk_fma_f16 v23, v21, 2.0, v24 op_sel_hi:[1,0,1] neg_lo:[0,0,1] neg_hi:[0,0,1]
	v_pk_fma_f16 v39, v26, 2.0, v40 op_sel_hi:[1,0,1] neg_lo:[0,0,1] neg_hi:[0,0,1]
	v_pk_fma_f16 v27, v27, 2.0, v28 op_sel_hi:[1,0,1] neg_lo:[0,0,1] neg_hi:[0,0,1]
	v_pk_fma_f16 v41, v30, 2.0, v42 op_sel_hi:[1,0,1] neg_lo:[0,0,1] neg_hi:[0,0,1]
	v_pk_fma_f16 v31, v31, 2.0, v32 op_sel_hi:[1,0,1] neg_lo:[0,0,1] neg_hi:[0,0,1]
	v_pk_fma_f16 v43, v34, 2.0, v44 op_sel_hi:[1,0,1] neg_lo:[0,0,1] neg_hi:[0,0,1]
	v_pk_fma_f16 v35, v35, 2.0, v36 op_sel_hi:[1,0,1] neg_lo:[0,0,1] neg_hi:[0,0,1]
	v_pk_fma_f16 v45, v22, 2.0, v46 op_sel_hi:[1,0,1] neg_lo:[0,0,1] neg_hi:[0,0,1]
	ds_store_b64 v91, v[37:38]
	ds_store_b64 v94, v[23:24]
	ds_store_b64 v93, v[39:40]
	ds_store_b64 v92, v[27:28]
	ds_store_b64 v97, v[41:42]
	ds_store_b64 v95, v[31:32]
	ds_store_b64 v99, v[43:44]
	ds_store_b64 v98, v[35:36]
	ds_store_b64 v96, v[45:46]
	global_wb scope:SCOPE_SE
	s_wait_dscnt 0x0
	s_barrier_signal -1
	s_barrier_wait -1
	global_inv scope:SCOPE_SE
	global_load_b32 v90, v47, s[10:11]
	v_and_or_b32 v26, 0xfc, v0, v16
	v_lshlrev_b32_e32 v21, 1, v14
	v_lshlrev_b32_e32 v22, 1, v13
	;; [unrolled: 1-line block ×5, first 2 shown]
	v_lshl_add_u32 v163, v26, 2, v100
	v_and_or_b32 v26, 0x1fc, v21, v16
	v_and_or_b32 v32, 0x3fc, v22, v16
	;; [unrolled: 1-line block ×5, first 2 shown]
	v_lshl_add_u32 v162, v26, 2, v100
	ds_load_2addr_b32 v[26:27], v5 offset0:128 offset1:240
	ds_load_2addr_b32 v[28:29], v61 offset1:112
	ds_load_2addr_b32 v[30:31], v4 offset0:96 offset1:208
	v_lshl_add_u32 v160, v32, 2, v100
	v_lshl_add_u32 v157, v33, 2, v100
	ds_load_2addr_b32 v[32:33], v7 offset0:96 offset1:208
	ds_load_2addr_b32 v[34:35], v10 offset0:64 offset1:176
	v_lshl_add_u32 v154, v36, 2, v100
	v_lshl_add_u32 v146, v37, 2, v100
	ds_load_2addr_b32 v[36:37], v6 offset0:64 offset1:176
	ds_load_2addr_b32 v[38:39], v9 offset0:32 offset1:144
	ds_load_2addr_b32 v[42:43], v8 offset1:112
	v_lshlrev_b32_e32 v20, 1, v50
	v_and_or_b32 v40, 0x7fc, v1, v16
	v_and_or_b32 v41, 0x7fc, v15, v16
	v_and_b32_e32 v44, 3, v78
	s_delay_alu instid0(VALU_DEP_4) | instskip(NEXT) | instid1(VALU_DEP_4)
	v_and_or_b32 v16, 0x7fc, v20, v16
	v_lshl_add_u32 v139, v40, 2, v100
	s_delay_alu instid0(VALU_DEP_4)
	v_lshl_add_u32 v135, v41, 2, v100
	ds_load_2addr_b32 v[40:41], v11 offset0:32 offset1:144
	v_lshlrev_b32_e32 v45, 2, v44
	v_lshl_add_u32 v132, v16, 2, v100
	s_wait_dscnt 0x8
	v_lshrrev_b32_e32 v16, 16, v27
	s_wait_dscnt 0x6
	v_lshrrev_b32_e32 v47, 16, v30
	v_lshrrev_b32_e32 v49, 16, v31
	v_lshrrev_b32_e32 v46, 16, v28
	s_wait_dscnt 0x4
	v_lshrrev_b32_e32 v102, 16, v34
	v_lshrrev_b32_e32 v104, 16, v35
	;; [unrolled: 4-line block ×3, first 2 shown]
	s_wait_dscnt 0x1
	v_lshrrev_b32_e32 v110, 16, v42
	v_lshrrev_b32_e32 v112, 16, v43
	v_lshrrev_b32_e32 v101, 16, v32
	v_lshrrev_b32_e32 v103, 16, v33
	v_lshrrev_b32_e32 v105, 16, v36
	v_lshrrev_b32_e32 v107, 16, v37
	v_lshrrev_b32_e32 v113, 16, v26
	global_wb scope:SCOPE_SE
	s_wait_loadcnt_dscnt 0x0
	v_lshrrev_b32_e32 v109, 16, v40
	v_lshrrev_b32_e32 v111, 16, v41
	s_barrier_signal -1
	s_barrier_wait -1
	global_inv scope:SCOPE_SE
	v_lshrrev_b32_e32 v143, 16, v90
	s_delay_alu instid0(VALU_DEP_1)
	v_mul_f16_e64 v114, v16, v143
	v_mul_f16_e64 v115, v27, v143
	;; [unrolled: 1-line block ×18, first 2 shown]
	v_fma_f16 v27, v27, v90, -v114
	v_fmac_f16_e32 v115, v16, v90
	v_fmac_f16_e32 v116, v47, v90
	v_fma_f16 v16, v30, v90, -v117
	v_fma_f16 v30, v31, v90, -v118
	v_fmac_f16_e32 v119, v49, v90
	v_fmac_f16_e32 v120, v102, v90
	v_fma_f16 v31, v34, v90, -v121
	;; [unrolled: 4-line block ×3, first 2 shown]
	v_fma_f16 v38, v39, v90, -v126
	v_fmac_f16_e32 v127, v108, v90
	v_fmac_f16_e64 v128, v110, v90
	v_fma_f16 v39, v42, v90, -v129
	v_fma_f16 v42, v43, v90, -v130
	v_fmac_f16_e64 v131, v112, v90
	v_sub_f16_e32 v27, v28, v27
	v_sub_f16_e32 v43, v46, v115
	;; [unrolled: 1-line block ×15, first 2 shown]
	v_sub_f16_e64 v110, v111, v128
	v_sub_f16_e32 v42, v26, v42
	v_sub_f16_e64 v112, v113, v131
	v_fma_f16 v28, v28, 2.0, -v27
	v_fma_f16 v46, v46, 2.0, -v43
	v_pack_b32_f16 v27, v27, v43
	v_fma_f16 v29, v29, 2.0, -v16
	v_fma_f16 v43, v48, 2.0, -v47
	v_pack_b32_f16 v16, v16, v47
	v_fma_f16 v47, v101, 2.0, -v49
	v_pack_b32_f16 v48, v30, v49
	v_fma_f16 v30, v32, 2.0, -v30
	v_fma_f16 v32, v33, 2.0, -v31
	;; [unrolled: 1-line block ×4, first 2 shown]
	v_pack_b32_f16 v101, v34, v104
	v_fma_f16 v34, v36, 2.0, -v34
	v_pack_b32_f16 v31, v31, v102
	v_fma_f16 v36, v37, 2.0, -v35
	v_fma_f16 v37, v107, 2.0, -v106
	;; [unrolled: 1-line block ×3, first 2 shown]
	v_pack_b32_f16 v103, v38, v108
	v_fma_f16 v38, v40, 2.0, -v38
	v_fma_f16 v40, v41, 2.0, -v39
	;; [unrolled: 1-line block ×5, first 2 shown]
	v_pack_b32_f16 v28, v28, v46
	v_pack_b32_f16 v29, v29, v43
	;; [unrolled: 1-line block ×12, first 2 shown]
	ds_store_2addr_b32 v163, v28, v27 offset1:2
	ds_store_2addr_b32 v162, v29, v16 offset1:2
	;; [unrolled: 1-line block ×9, first 2 shown]
	global_wb scope:SCOPE_SE
	s_wait_dscnt 0x0
	s_barrier_signal -1
	s_barrier_wait -1
	global_inv scope:SCOPE_SE
	global_load_b32 v103, v45, s[10:11] offset:8
	v_and_or_b32 v26, 0xf8, v0, v44
	v_and_or_b32 v32, 0x3f8, v22, v44
	;; [unrolled: 1-line block ×5, first 2 shown]
	v_lshl_add_u32 v151, v26, 2, v100
	v_and_or_b32 v26, 0x1f8, v21, v44
	v_and_or_b32 v42, 0x7f8, v20, v44
	v_lshl_add_u32 v141, v32, 2, v100
	v_lshl_add_u32 v137, v33, 2, v100
	;; [unrolled: 1-line block ×4, first 2 shown]
	ds_load_2addr_b32 v[26:27], v5 offset0:128 offset1:240
	ds_load_2addr_b32 v[28:29], v61 offset1:112
	ds_load_2addr_b32 v[30:31], v4 offset0:96 offset1:208
	ds_load_2addr_b32 v[32:33], v7 offset0:96 offset1:208
	;; [unrolled: 1-line block ×3, first 2 shown]
	v_lshl_add_u32 v126, v37, 2, v100
	ds_load_2addr_b32 v[36:37], v6 offset0:64 offset1:176
	ds_load_2addr_b32 v[38:39], v9 offset0:32 offset1:144
	v_lshl_add_u32 v114, v42, 2, v100
	ds_load_2addr_b32 v[42:43], v8 offset1:112
	v_and_or_b32 v40, 0x7f8, v1, v44
	v_and_or_b32 v41, 0x7f8, v15, v44
	v_and_b32_e32 v16, 7, v78
	s_delay_alu instid0(VALU_DEP_3) | instskip(NEXT) | instid1(VALU_DEP_3)
	v_lshl_add_u32 v121, v40, 2, v100
	v_lshl_add_u32 v116, v41, 2, v100
	ds_load_2addr_b32 v[40:41], v11 offset0:32 offset1:144
	v_lshlrev_b32_e32 v45, 2, v16
	global_wb scope:SCOPE_SE
	s_wait_loadcnt_dscnt 0x0
	s_barrier_signal -1
	s_barrier_wait -1
	v_lshrrev_b32_e32 v44, 16, v27
	v_lshrrev_b32_e32 v46, 16, v28
	;; [unrolled: 1-line block ×18, first 2 shown]
	global_inv scope:SCOPE_SE
	v_lshrrev_b32_e32 v124, 16, v103
	s_delay_alu instid0(VALU_DEP_1)
	v_mul_f16_e32 v117, v27, v124
	v_mul_f16_e32 v118, v44, v124
	;; [unrolled: 1-line block ×8, first 2 shown]
	v_mul_f16_e64 v128, v105, v124
	v_mul_f16_e64 v129, v35, v124
	;; [unrolled: 1-line block ×10, first 2 shown]
	v_fmac_f16_e32 v117, v44, v103
	v_fma_f16 v27, v27, v103, -v118
	v_fmac_f16_e32 v119, v47, v103
	v_fma_f16 v30, v30, v103, -v120
	v_fma_f16 v31, v31, v103, -v122
	v_fmac_f16_e32 v123, v49, v103
	v_fmac_f16_e32 v125, v102, v103
	v_fma_f16 v34, v34, v103, -v127
	v_fma_f16 v35, v35, v103, -v128
	v_fmac_f16_e64 v129, v105, v103
	v_fmac_f16_e64 v131, v107, v103
	v_fma_f16 v38, v38, v103, -v133
	v_fma_f16 v39, v39, v103, -v134
	v_fmac_f16_e64 v136, v109, v103
	v_fmac_f16_e64 v138, v111, v103
	v_fma_f16 v42, v42, v103, -v140
	v_fma_f16 v43, v43, v103, -v142
	v_fmac_f16_e64 v144, v113, v103
	v_sub_f16_e32 v44, v46, v117
	v_sub_f16_e32 v27, v28, v27
	;; [unrolled: 1-line block ×8, first 2 shown]
	v_sub_f16_e64 v105, v106, v129
	v_sub_f16_e32 v35, v36, v35
	v_sub_f16_e32 v38, v37, v38
	v_sub_f16_e64 v107, v108, v131
	v_sub_f16_e64 v109, v110, v136
	v_sub_f16_e32 v39, v40, v39
	v_sub_f16_e32 v42, v41, v42
	v_sub_f16_e64 v111, v112, v138
	v_sub_f16_e32 v43, v26, v43
	v_sub_f16_e64 v113, v115, v144
	v_fma_f16 v46, v46, 2.0, -v44
	v_pack_b32_f16 v44, v27, v44
	v_fma_f16 v27, v28, 2.0, -v27
	v_fma_f16 v28, v29, 2.0, -v30
	;; [unrolled: 1-line block ×3, first 2 shown]
	v_pack_b32_f16 v30, v30, v47
	v_fma_f16 v47, v101, 2.0, -v49
	v_pack_b32_f16 v48, v31, v49
	v_fma_f16 v31, v32, 2.0, -v31
	v_fma_f16 v32, v33, 2.0, -v34
	;; [unrolled: 1-line block ×4, first 2 shown]
	v_pack_b32_f16 v101, v35, v105
	v_fma_f16 v35, v36, 2.0, -v35
	v_pack_b32_f16 v34, v34, v102
	v_fma_f16 v36, v37, 2.0, -v38
	v_fma_f16 v37, v108, 2.0, -v107
	;; [unrolled: 1-line block ×3, first 2 shown]
	v_pack_b32_f16 v104, v39, v109
	v_fma_f16 v39, v40, 2.0, -v39
	v_fma_f16 v40, v41, 2.0, -v42
	;; [unrolled: 1-line block ×5, first 2 shown]
	v_pack_b32_f16 v27, v27, v46
	v_pack_b32_f16 v28, v28, v29
	;; [unrolled: 1-line block ×12, first 2 shown]
	ds_store_2addr_b32 v151, v27, v44 offset1:4
	ds_store_2addr_b32 v149, v28, v30 offset1:4
	;; [unrolled: 1-line block ×9, first 2 shown]
	global_wb scope:SCOPE_SE
	s_wait_dscnt 0x0
	s_barrier_signal -1
	s_barrier_wait -1
	global_inv scope:SCOPE_SE
	global_load_b32 v102, v45, s[10:11] offset:24
	v_and_or_b32 v26, 0xf0, v0, v16
	v_and_or_b32 v32, 0x3f0, v22, v16
	;; [unrolled: 1-line block ×5, first 2 shown]
	v_lshl_add_u32 v152, v26, 2, v100
	v_and_or_b32 v26, 0x1f0, v21, v16
	v_lshl_add_u32 v142, v32, 2, v100
	v_lshl_add_u32 v138, v33, 2, v100
	;; [unrolled: 1-line block ×5, first 2 shown]
	ds_load_2addr_b32 v[26:27], v5 offset0:128 offset1:240
	ds_load_2addr_b32 v[28:29], v61 offset1:112
	ds_load_2addr_b32 v[30:31], v4 offset0:96 offset1:208
	ds_load_2addr_b32 v[32:33], v7 offset0:96 offset1:208
	;; [unrolled: 1-line block ×5, first 2 shown]
	ds_load_2addr_b32 v[42:43], v8 offset1:112
	v_and_or_b32 v40, 0x7f0, v1, v16
	v_and_or_b32 v41, 0x7f0, v15, v16
	;; [unrolled: 1-line block ×3, first 2 shown]
	v_and_b32_e32 v44, 15, v78
	s_delay_alu instid0(VALU_DEP_4) | instskip(NEXT) | instid1(VALU_DEP_4)
	v_lshl_add_u32 v119, v40, 2, v100
	v_lshl_add_u32 v115, v41, 2, v100
	ds_load_2addr_b32 v[40:41], v11 offset0:32 offset1:144
	v_lshl_add_u32 v113, v16, 2, v100
	v_lshlrev_b32_e32 v45, 2, v44
	global_wb scope:SCOPE_SE
	s_wait_loadcnt_dscnt 0x0
	s_barrier_signal -1
	s_barrier_wait -1
	global_inv scope:SCOPE_SE
	v_lshrrev_b32_e32 v16, 16, v27
	v_lshrrev_b32_e32 v46, 16, v28
	;; [unrolled: 1-line block ×18, first 2 shown]
	v_and_or_b32 v0, 0xe0, v0, v44
	v_and_or_b32 v22, 0x3e0, v22, v44
	;; [unrolled: 1-line block ×3, first 2 shown]
	v_lshrrev_b32_e32 v123, 16, v102
	s_delay_alu instid0(VALU_DEP_1)
	v_mul_f16_e32 v122, v27, v123
	v_mul_f16_e32 v127, v16, v123
	v_mul_f16_e64 v129, v30, v123
	v_mul_f16_e64 v131, v47, v123
	;; [unrolled: 1-line block ×16, first 2 shown]
	v_fmac_f16_e32 v122, v16, v102
	v_fma_f16 v16, v27, v102, -v127
	v_fmac_f16_e64 v129, v47, v102
	v_fma_f16 v27, v30, v102, -v131
	v_fma_f16 v30, v31, v102, -v133
	v_fmac_f16_e64 v134, v49, v102
	v_fmac_f16_e64 v136, v104, v102
	v_fma_f16 v31, v34, v102, -v140
	v_fma_f16 v34, v35, v102, -v144
	v_fmac_f16_e64 v145, v106, v102
	;; [unrolled: 4-line block ×4, first 2 shown]
	v_sub_f16_e32 v43, v46, v122
	v_sub_f16_e32 v16, v28, v16
	;; [unrolled: 1-line block ×3, first 2 shown]
	v_sub_f16_e64 v47, v48, v129
	v_sub_f16_e64 v49, v101, v134
	v_sub_f16_e32 v30, v32, v30
	v_sub_f16_e32 v31, v33, v31
	v_sub_f16_e64 v104, v105, v136
	v_sub_f16_e64 v106, v107, v145
	v_sub_f16_e32 v34, v36, v34
	v_sub_f16_e32 v35, v37, v35
	;; [unrolled: 4-line block ×3, first 2 shown]
	v_sub_f16_e64 v112, v117, v156
	v_sub_f16_e32 v42, v26, v42
	v_sub_f16_e64 v118, v120, v161
	v_fma_f16 v46, v46, 2.0, -v43
	v_pack_b32_f16 v43, v16, v43
	v_fma_f16 v16, v28, 2.0, -v16
	v_fma_f16 v28, v29, 2.0, -v27
	;; [unrolled: 1-line block ×3, first 2 shown]
	v_pack_b32_f16 v27, v27, v47
	v_fma_f16 v47, v101, 2.0, -v49
	v_pack_b32_f16 v48, v30, v49
	v_fma_f16 v30, v32, 2.0, -v30
	v_fma_f16 v32, v33, 2.0, -v31
	;; [unrolled: 1-line block ×4, first 2 shown]
	v_pack_b32_f16 v101, v34, v106
	v_fma_f16 v34, v36, 2.0, -v34
	v_pack_b32_f16 v31, v31, v104
	v_fma_f16 v36, v37, 2.0, -v35
	v_fma_f16 v37, v109, 2.0, -v108
	v_fma_f16 v104, v111, 2.0, -v110
	v_pack_b32_f16 v105, v38, v110
	v_fma_f16 v38, v40, 2.0, -v38
	v_fma_f16 v40, v41, 2.0, -v39
	;; [unrolled: 1-line block ×5, first 2 shown]
	v_pack_b32_f16 v16, v16, v46
	v_pack_b32_f16 v28, v28, v29
	;; [unrolled: 1-line block ×12, first 2 shown]
	ds_store_2addr_b32 v152, v16, v43 offset1:8
	ds_store_2addr_b32 v150, v28, v27 offset1:8
	;; [unrolled: 1-line block ×9, first 2 shown]
	global_wb scope:SCOPE_SE
	s_wait_dscnt 0x0
	s_barrier_signal -1
	s_barrier_wait -1
	global_inv scope:SCOPE_SE
	global_load_b32 v101, v45, s[10:11] offset:56
	v_lshl_add_u32 v158, v0, 2, v100
	v_and_or_b32 v0, 0x1e0, v21, v44
	v_and_or_b32 v29, 0x7e0, v24, v44
	;; [unrolled: 1-line block ×6, first 2 shown]
	v_lshl_add_u32 v156, v0, 2, v100
	ds_load_2addr_b32 v[0:1], v5 offset0:128 offset1:240
	ds_load_2addr_b32 v[15:16], v61 offset1:112
	ds_load_2addr_b32 v[20:21], v4 offset0:96 offset1:208
	v_lshl_add_u32 v153, v22, 2, v100
	v_lshl_add_u32 v145, v23, 2, v100
	ds_load_2addr_b32 v[22:23], v7 offset0:96 offset1:208
	ds_load_2addr_b32 v[24:25], v10 offset0:64 offset1:176
	v_lshl_add_u32 v134, v29, 2, v100
	v_lshl_add_u32 v131, v30, 2, v100
	ds_load_2addr_b32 v[29:30], v6 offset0:64 offset1:176
	ds_load_2addr_b32 v[31:32], v9 offset0:32 offset1:144
	v_lshl_add_u32 v117, v35, 2, v100
	ds_load_2addr_b32 v[35:36], v8 offset1:112
	v_lshl_add_u32 v127, v33, 2, v100
	v_lshl_add_u32 v122, v34, 2, v100
	ds_load_2addr_b32 v[33:34], v11 offset0:32 offset1:144
	v_and_b32_e32 v27, 31, v19
	v_and_b32_e32 v28, 31, v18
	v_and_b32_e32 v26, 31, v78
	global_wb scope:SCOPE_SE
	s_wait_loadcnt_dscnt 0x0
	s_barrier_signal -1
	v_lshlrev_b32_e32 v38, 3, v27
	v_lshrrev_b32_e32 v40, 16, v1
	v_lshrrev_b32_e32 v41, 16, v15
	;; [unrolled: 1-line block ×18, first 2 shown]
	s_barrier_wait -1
	global_inv scope:SCOPE_SE
	v_lshlrev_b32_e32 v39, 3, v28
	v_lshlrev_b32_e32 v37, 3, v26
	v_lshrrev_b32_e32 v129, 16, v101
	s_delay_alu instid0(VALU_DEP_1)
	v_mul_f16_e64 v112, v1, v129
	v_mul_f16_e64 v118, v40, v129
	;; [unrolled: 1-line block ×18, first 2 shown]
	v_fmac_f16_e32 v112, v40, v101
	v_fma_f16 v1, v1, v101, -v118
	v_fmac_f16_e32 v120, v42, v101
	v_fma_f16 v20, v20, v101, -v133
	v_fma_f16 v21, v21, v101, -v136
	v_fmac_f16_e64 v140, v44, v101
	v_fmac_f16_e64 v144, v46, v101
	v_fma_f16 v24, v24, v101, -v147
	v_fma_f16 v25, v25, v101, -v148
	v_fmac_f16_e64 v155, v48, v101
	v_fmac_f16_e64 v159, v104, v101
	v_fma_f16 v31, v31, v101, -v161
	v_fma_f16 v32, v32, v101, -v164
	v_fmac_f16_e64 v165, v106, v101
	v_fmac_f16_e64 v166, v108, v101
	v_fma_f16 v35, v35, v101, -v167
	v_fma_f16 v36, v36, v101, -v168
	v_fmac_f16_e64 v169, v110, v101
	v_sub_f16_e32 v40, v41, v112
	v_sub_f16_e32 v1, v15, v1
	;; [unrolled: 1-line block ×4, first 2 shown]
	v_sub_f16_e64 v44, v45, v140
	v_sub_f16_e32 v21, v22, v21
	v_sub_f16_e32 v24, v23, v24
	v_sub_f16_e64 v46, v47, v144
	v_sub_f16_e64 v48, v49, v155
	v_sub_f16_e32 v25, v29, v25
	v_sub_f16_e32 v31, v30, v31
	v_sub_f16_e64 v104, v105, v159
	;; [unrolled: 4-line block ×3, first 2 shown]
	v_sub_f16_e32 v36, v0, v36
	v_sub_f16_e64 v110, v111, v169
	v_fma_f16 v41, v41, 2.0, -v40
	v_pack_b32_f16 v40, v1, v40
	v_fma_f16 v1, v15, 2.0, -v1
	v_fma_f16 v15, v16, 2.0, -v20
	;; [unrolled: 1-line block ×3, first 2 shown]
	v_pack_b32_f16 v20, v20, v42
	v_fma_f16 v42, v45, 2.0, -v44
	v_pack_b32_f16 v43, v21, v44
	v_fma_f16 v21, v22, 2.0, -v21
	v_fma_f16 v22, v23, 2.0, -v24
	;; [unrolled: 1-line block ×4, first 2 shown]
	v_pack_b32_f16 v45, v25, v48
	v_fma_f16 v25, v29, 2.0, -v25
	v_pack_b32_f16 v24, v24, v46
	v_fma_f16 v29, v30, 2.0, -v31
	v_fma_f16 v30, v105, 2.0, -v104
	;; [unrolled: 1-line block ×3, first 2 shown]
	v_pack_b32_f16 v47, v32, v106
	v_fma_f16 v32, v33, 2.0, -v32
	v_fma_f16 v33, v34, 2.0, -v35
	;; [unrolled: 1-line block ×5, first 2 shown]
	v_pack_b32_f16 v1, v1, v41
	v_pack_b32_f16 v15, v15, v16
	;; [unrolled: 1-line block ×12, first 2 shown]
	ds_store_2addr_b32 v158, v1, v40 offset1:16
	ds_store_2addr_b32 v156, v15, v20 offset1:16
	;; [unrolled: 1-line block ×9, first 2 shown]
	v_and_b32_e32 v22, 31, v14
	global_wb scope:SCOPE_SE
	s_wait_dscnt 0x0
	s_barrier_signal -1
	s_barrier_wait -1
	global_inv scope:SCOPE_SE
	s_clause 0x8
	global_load_b32 v109, v38, s[10:11] offset:120
	global_load_b32 v112, v38, s[10:11] offset:122
	;; [unrolled: 1-line block ×3, first 2 shown]
	global_load_u16 v108, v38, s[10:11] offset:126
	global_load_u16 v147, v39, s[10:11] offset:120
	global_load_b64 v[15:16], v37, s[10:11] offset:120
	global_load_u16 v155, v39, s[10:11] offset:122
	global_load_u16 v144, v39, s[10:11] offset:126
	;; [unrolled: 1-line block ×3, first 2 shown]
	v_lshlrev_b32_e32 v0, 3, v22
	v_lshrrev_b32_e32 v20, 5, v78
	v_lshrrev_b32_e32 v24, 5, v14
	;; [unrolled: 1-line block ×4, first 2 shown]
	global_load_u16 v164, v0, s[10:11] offset:120
	v_add_co_u32 v0, s2, 0xffffffa0, v78
	s_wait_alu 0xf1ff
	v_add_co_ci_u32_e64 v1, null, 0, -1, s2
	v_mul_u32_u24_e32 v23, 0x60, v20
	s_wait_alu 0xfffd
	v_cndmask_b32_e32 v0, v0, v78, vcc_lo
	v_lshrrev_b32_e32 v30, 5, v17
	v_cndmask_b32_e64 v1, v1, 0, vcc_lo
	v_lshrrev_b32_e32 v31, 5, v19
	v_and_b32_e32 v32, 0xff, v14
	v_and_b32_e32 v33, 0xffff, v18
	v_and_b32_e32 v34, 0xffff, v13
	v_and_b32_e32 v35, 0xffff, v17
	v_and_b32_e32 v36, 0xffff, v19
	v_lshlrev_b64_e32 v[20:21], 3, v[0:1]
	v_or_b32_e32 v1, v23, v26
	v_mul_u32_u24_e32 v23, 0x60, v24
	v_mul_u32_u24_e32 v24, 0x60, v25
	;; [unrolled: 1-line block ×5, first 2 shown]
	v_mul_lo_u16 v31, 0xab, v32
	v_mul_u32_u24_e32 v32, 0xaaab, v33
	v_mul_u32_u24_e32 v33, 0xaaab, v34
	;; [unrolled: 1-line block ×4, first 2 shown]
	v_lshl_add_u32 v161, v1, 2, v100
	v_or_b32_e32 v1, v23, v22
	v_or_b32_e32 v23, v25, v28
	v_or_b32_e32 v25, v30, v27
	v_lshrrev_b32_e32 v48, 22, v35
	v_or_b32_e32 v22, v24, v26
	v_lshrrev_b32_e32 v45, 22, v32
	v_or_b32_e32 v24, v29, v26
	v_lshl_add_u32 v118, v25, 2, v100
	v_mul_lo_u16 v25, 0x60, v48
	v_lshrrev_b16 v44, 14, v31
	v_lshrrev_b32_e32 v47, 22, v34
	v_lshl_add_u32 v148, v22, 2, v100
	v_mul_lo_u16 v22, 0x60, v45
	v_sub_nc_u16 v106, v19, v25
	v_lshrrev_b32_e32 v46, 22, v33
	v_lshl_add_u32 v133, v23, 2, v100
	v_lshl_add_u32 v120, v24, 2, v100
	v_mul_lo_u16 v23, 0x60, v44
	v_mul_lo_u16 v24, 0x60, v47
	v_sub_nc_u16 v49, v18, v22
	v_lshlrev_b16 v22, 3, v106
	v_lshl_add_u32 v159, v1, 2, v100
	v_mul_lo_u16 v1, 0x60, v46
	v_sub_nc_u16 v14, v14, v23
	v_sub_nc_u16 v105, v17, v24
	v_and_b32_e32 v110, 0xffff, v22
	ds_load_2addr_b32 v[22:23], v11 offset0:32 offset1:144
	ds_load_2addr_b32 v[24:25], v10 offset0:64 offset1:176
	ds_load_2addr_b32 v[26:27], v61 offset1:112
	ds_load_2addr_b32 v[30:31], v5 offset0:128 offset1:240
	ds_load_2addr_b32 v[32:33], v7 offset0:96 offset1:208
	;; [unrolled: 1-line block ×4, first 2 shown]
	v_sub_nc_u16 v1, v13, v1
	ds_load_2addr_b32 v[40:41], v8 offset1:112
	ds_load_2addr_b32 v[42:43], v6 offset0:64 offset1:176
	v_lshlrev_b16 v18, 3, v49
	v_lshlrev_b16 v19, 3, v105
	v_add_co_u32 v20, vcc_lo, s10, v20
	v_lshlrev_b16 v17, 3, v1
	s_delay_alu instid0(VALU_DEP_4) | instskip(NEXT) | instid1(VALU_DEP_4)
	v_and_b32_e32 v28, 0xffff, v18
	v_and_b32_e32 v19, 0xffff, v19
	;; [unrolled: 1-line block ×3, first 2 shown]
	s_wait_alu 0xfffd
	v_add_co_ci_u32_e32 v21, vcc_lo, s11, v21, vcc_lo
	v_and_b32_e32 v17, 0xffff, v17
	global_wb scope:SCOPE_SE
	s_wait_loadcnt_dscnt 0x0
	v_lshlrev_b32_e32 v107, 3, v14
	s_barrier_signal -1
	v_lshrrev_b32_e32 v168, 16, v31
	v_add_co_u32 v17, s2, s10, v17
	s_wait_alu 0xf1ff
	v_add_co_ci_u32_e64 v18, null, s11, 0, s2
	v_add_co_u32 v28, s2, s10, v28
	v_lshrrev_b32_e32 v170, 16, v35
	s_wait_alu 0xf1ff
	v_add_co_ci_u32_e64 v29, null, s11, 0, s2
	v_add_co_u32 v38, s2, s10, v19
	v_lshrrev_b32_e32 v19, 16, v22
	v_lshrrev_b32_e32 v111, 16, v23
	;; [unrolled: 1-line block ×16, first 2 shown]
	s_wait_alu 0xf1ff
	v_add_co_ci_u32_e64 v39, null, s11, 0, s2
	s_barrier_wait -1
	global_inv scope:SCOPE_SE
	v_cmp_lt_u16_e32 vcc_lo, 0x5f, v2
	v_mad_u16 v1, 0x120, v46, v1
	v_lshrrev_b32_e32 v187, 16, v109
	v_lshrrev_b32_e32 v182, 16, v112
	;; [unrolled: 1-line block ×3, first 2 shown]
	v_mul_f16_e64 v189, v176, v112
	v_mul_f16_e64 v190, v37, v112
	v_lshrrev_b32_e32 v174, 16, v15
	v_lshrrev_b32_e32 v171, 16, v16
	v_mul_f16_e64 v183, v168, v155
	v_mul_f16_e64 v185, v31, v155
	;; [unrolled: 1-line block ×14, first 2 shown]
	v_fma_f16 v31, v31, v147, -v183
	v_mul_f16_e64 v183, v169, v174
	v_mul_f16_e64 v201, v30, v174
	v_fma_f16 v35, v35, v140, -v186
	v_mul_f16_e64 v186, v172, v171
	v_mul_f16_e64 v202, v34, v171
	v_fmac_f16_e64 v185, v168, v147
	v_fmac_f16_e64 v188, v170, v140
	v_fma_f16 v37, v37, v109, -v189
	v_mul_f16_e64 v168, v177, v174
	v_mul_f16_e64 v170, v36, v174
	v_fma_f16 v41, v41, v104, -v191
	v_mul_f16_e64 v189, v179, v171
	v_mul_f16_e64 v191, v40, v171
	v_fmac_f16_e64 v190, v176, v109
	v_fmac_f16_e64 v192, v178, v104
	v_fma_f16 v22, v22, v15, -v193
	v_fma_f16 v23, v23, v164, -v194
	v_fma_f16 v24, v24, v16, -v197
	v_fma_f16 v25, v25, v182, -v198
	v_fmac_f16_e64 v195, v19, v15
	v_fmac_f16_e64 v199, v136, v16
	v_fmac_f16_e64 v196, v111, v164
	v_fmac_f16_e64 v200, v165, v182
	v_fma_f16 v19, v30, v15, -v183
	v_fma_f16 v30, v34, v16, -v186
	v_fmac_f16_e64 v201, v169, v15
	v_fmac_f16_e64 v202, v172, v16
	v_add_f16_e32 v34, v31, v35
	v_add_f16_e64 v136, v185, v188
	v_add_f16_e32 v111, v33, v31
	v_add_f16_e64 v165, v173, v185
	v_sub_f16_e64 v169, v185, v188
	v_fma_f16 v36, v36, v15, -v168
	v_fma_f16 v40, v40, v16, -v189
	v_add_f16_e64 v168, v37, v41
	v_add_f16_e64 v176, v190, v192
	;; [unrolled: 1-line block ×3, first 2 shown]
	v_sub_f16_e64 v183, v190, v192
	v_fmac_f16_e64 v170, v177, v15
	v_fmac_f16_e64 v191, v179, v16
	v_add_f16_e64 v177, v23, v25
	v_add_f16_e64 v185, v196, v200
	;; [unrolled: 1-line block ×3, first 2 shown]
	v_sub_f16_e64 v189, v196, v200
	v_add_f16_e64 v190, v22, v24
	v_add_f16_e64 v193, v26, v22
	;; [unrolled: 1-line block ×4, first 2 shown]
	v_sub_f16_e32 v31, v31, v35
	v_add_f16_e64 v172, v43, v37
	v_add_f16_e64 v179, v27, v23
	v_fmac_f16_e32 v33, -0.5, v34
	v_fmac_f16_e64 v173, -0.5, v136
	v_add_f16_e32 v34, v19, v30
	v_add_f16_e64 v136, v32, v19
	v_add_f16_e64 v197, v175, v201
	;; [unrolled: 1-line block ×3, first 2 shown]
	v_sub_f16_e32 v37, v37, v41
	v_sub_f16_e32 v23, v23, v25
	v_sub_f16_e64 v195, v195, v199
	v_sub_f16_e32 v22, v22, v24
	v_add_f16_e32 v35, v111, v35
	v_add_f16_e64 v111, v165, v188
	v_fmac_f16_e64 v43, -0.5, v168
	v_fmac_f16_e64 v180, -0.5, v176
	v_add_f16_e64 v165, v36, v40
	v_add_f16_e64 v168, v42, v36
	;; [unrolled: 1-line block ×4, first 2 shown]
	v_fmac_f16_e64 v27, -0.5, v177
	v_fmac_f16_e64 v166, -0.5, v185
	v_fma_f16 v26, -0.5, v190, v26
	v_add_f16_e64 v177, v194, v199
	v_add_f16_e64 v24, v193, v24
	v_fmac_f16_e64 v167, -0.5, v196
	v_sub_f16_e64 v201, v201, v202
	v_sub_f16_e32 v19, v19, v30
	v_add_f16_e64 v41, v172, v41
	v_add_f16_e64 v172, v178, v192
	;; [unrolled: 1-line block ×4, first 2 shown]
	v_fma_f16 v179, 0x3aee, v169, v33
	v_fmac_f16_e64 v33, 0xbaee, v169
	v_fma_f16 v169, 0xbaee, v31, v173
	v_fmac_f16_e64 v173, 0x3aee, v31
	v_fma_f16 v31, -0.5, v34, v32
	v_add_f16_e64 v32, v197, v202
	v_add_f16_e64 v30, v136, v30
	v_fmac_f16_e64 v175, -0.5, v198
	v_sub_f16_e32 v36, v36, v40
	v_sub_f16_e64 v170, v170, v191
	v_pack_b32_f16 v34, v35, v111
	v_fma_f16 v111, 0xbaee, v37, v180
	v_fmac_f16_e64 v180, 0x3aee, v37
	v_fma_f16 v37, -0.5, v165, v42
	v_add_f16_e64 v40, v168, v40
	v_add_f16_e64 v42, v176, v191
	v_fmac_f16_e64 v181, -0.5, v188
	v_fma_f16 v165, 0xbaee, v23, v166
	v_fmac_f16_e64 v166, 0x3aee, v23
	v_pack_b32_f16 v23, v24, v177
	v_fma_f16 v24, 0x3aee, v195, v26
	v_fma_f16 v168, 0xbaee, v22, v167
	v_fmac_f16_e64 v26, 0xbaee, v195
	v_fmac_f16_e64 v167, 0x3aee, v22
	v_fma_f16 v136, 0x3aee, v189, v27
	v_fmac_f16_e64 v27, 0xbaee, v189
	v_pack_b32_f16 v22, v25, v178
	v_pack_b32_f16 v25, v33, v173
	;; [unrolled: 1-line block ×3, first 2 shown]
	v_fma_f16 v32, 0x3aee, v201, v31
	v_fma_f16 v33, 0xbaee, v19, v175
	v_fmac_f16_e64 v31, 0xbaee, v201
	v_fmac_f16_e64 v175, 0x3aee, v19
	v_fma_f16 v35, 0x3aee, v183, v43
	v_fmac_f16_e64 v43, 0xbaee, v183
	v_pack_b32_f16 v19, v179, v169
	v_pack_b32_f16 v40, v40, v42
	v_fma_f16 v42, 0x3aee, v170, v37
	v_fma_f16 v169, 0xbaee, v36, v181
	v_fmac_f16_e64 v37, 0xbaee, v170
	v_fmac_f16_e64 v181, 0x3aee, v36
	v_pack_b32_f16 v24, v24, v168
	v_pack_b32_f16 v26, v26, v167
	;; [unrolled: 1-line block ×11, first 2 shown]
	ds_store_2addr_b32 v161, v23, v24 offset1:32
	ds_store_b32 v161, v26 offset:256
	ds_store_2addr_b32 v159, v22, v36 offset1:32
	ds_store_b32 v159, v27 offset:256
	ds_store_2addr_b32 v148, v30, v32 offset1:32
	ds_store_b32 v148, v31 offset:256
	ds_store_2addr_b32 v133, v34, v19 offset1:32
	ds_store_b32 v133, v25 offset:256
	ds_store_2addr_b32 v120, v40, v33 offset1:32
	ds_store_b32 v120, v37 offset:256
	ds_store_2addr_b32 v118, v41, v35 offset1:32
	ds_store_b32 v118, v43 offset:256
	global_wb scope:SCOPE_SE
	s_wait_dscnt 0x0
	s_barrier_signal -1
	s_barrier_wait -1
	global_inv scope:SCOPE_SE
	s_clause 0x3
	global_load_b64 v[31:32], v[20:21], off offset:376
	global_load_b64 v[21:22], v[28:29], off offset:376
	;; [unrolled: 1-line block ×3, first 2 shown]
	global_load_b64 v[29:30], v107, s[10:11] offset:376
	v_add_co_u32 v17, s2, s10, v110
	s_wait_alu 0xf1ff
	v_add_co_ci_u32_e64 v18, null, s11, 0, s2
	s_clause 0x1
	global_load_b64 v[19:20], v[38:39], off offset:376
	global_load_b64 v[17:18], v[17:18], off offset:376
	s_wait_alu 0xfffd
	v_cndmask_b32_e64 v25, 0, 0x120, vcc_lo
	v_mad_u16 v26, 0x120, v47, v105
	v_mad_u16 v27, 0x120, v48, v106
	v_and_b32_e32 v34, 0xffff, v1
	ds_load_2addr_b32 v[36:37], v9 offset0:32 offset1:144
	v_add_nc_u32_e32 v0, v0, v25
	v_and_b32_e32 v25, 0xffff, v44
	v_and_b32_e32 v40, 0xffff, v26
	;; [unrolled: 1-line block ×3, first 2 shown]
	ds_load_2addr_b32 v[27:28], v5 offset0:128 offset1:240
	v_lshl_add_u32 v136, v0, 2, v100
	v_mul_u32_u24_e32 v0, 0x120, v25
	v_mad_u16 v25, 0x120, v45, v49
	v_lshl_add_u32 v111, v34, 2, v100
	ds_load_2addr_b32 v[38:39], v7 offset0:96 offset1:208
	v_lshl_add_u32 v106, v40, 2, v100
	v_add_nc_u32_e32 v14, v0, v14
	v_and_b32_e32 v35, 0xffff, v25
	ds_load_2addr_b32 v[0:1], v11 offset0:32 offset1:144
	ds_load_2addr_b32 v[10:11], v10 offset0:64 offset1:176
	ds_load_2addr_b32 v[25:26], v61 offset1:112
	v_lshl_add_u32 v110, v14, 2, v100
	v_lshl_add_u32 v105, v35, 2, v100
	ds_load_2addr_b32 v[40:41], v4 offset0:96 offset1:208
	ds_load_2addr_b32 v[7:8], v8 offset1:112
	ds_load_2addr_b32 v[34:35], v6 offset0:64 offset1:176
	v_lshl_add_u32 v107, v43, 2, v100
	s_wait_dscnt 0x8
	v_lshrrev_b32_e32 v48, 16, v36
	v_lshrrev_b32_e32 v49, 16, v37
	v_add_nc_u32_e32 v33, 0x400, v61
	v_add_nc_u32_e32 v42, 0x800, v61
	s_wait_dscnt 0x7
	v_lshrrev_b32_e32 v46, 16, v27
	v_lshrrev_b32_e32 v47, 16, v28
	v_add_nc_u32_e32 v179, 0x1600, v61
	v_add_nc_u32_e32 v180, 0x1a00, v61
	global_wb scope:SCOPE_SE
	s_wait_loadcnt_dscnt 0x0
	v_lshrrev_b32_e32 v181, 16, v39
	v_lshrrev_b32_e32 v183, 16, v38
	s_barrier_signal -1
	s_barrier_wait -1
	v_lshrrev_b32_e32 v6, 16, v0
	v_lshrrev_b32_e32 v9, 16, v1
	;; [unrolled: 1-line block ×12, first 2 shown]
	global_inv scope:SCOPE_SE
	s_load_b64 s[2:3], s[0:1], 0x38
	v_cmp_gt_u16_e32 vcc_lo, 64, v2
	v_lshrrev_b32_e32 v178, 16, v31
	v_lshrrev_b32_e32 v177, 16, v32
	;; [unrolled: 1-line block ×8, first 2 shown]
	v_mul_f16_e64 v190, v6, v178
	v_lshrrev_b32_e32 v167, 16, v19
	v_lshrrev_b32_e32 v168, 16, v20
	;; [unrolled: 1-line block ×4, first 2 shown]
	v_mul_f16_e64 v191, v9, v176
	v_mul_f16_e64 v192, v0, v178
	;; [unrolled: 1-line block ×23, first 2 shown]
	v_fma_f16 v0, v0, v31, -v190
	v_fma_f16 v1, v1, v29, -v191
	;; [unrolled: 1-line block ×4, first 2 shown]
	v_fmac_f16_e64 v192, v6, v31
	v_fmac_f16_e64 v198, v14, v32
	;; [unrolled: 1-line block ×4, first 2 shown]
	v_fma_f16 v6, v27, v23, -v200
	v_fma_f16 v9, v28, v21, -v201
	;; [unrolled: 1-line block ×4, first 2 shown]
	v_fmac_f16_e64 v202, v46, v23
	v_fmac_f16_e64 v206, v48, v24
	;; [unrolled: 1-line block ×6, first 2 shown]
	v_fma_f16 v28, v40, v19, -v210
	v_fma_f16 v7, v7, v20, -v211
	;; [unrolled: 1-line block ×4, first 2 shown]
	v_fmac_f16_e64 v213, v188, v17
	v_fmac_f16_e64 v215, v189, v18
	v_add_f16_e32 v37, v1, v11
	v_add_f16_e64 v41, v193, v199
	v_add_f16_e32 v47, v0, v10
	v_add_f16_e32 v48, v25, v0
	v_add_f16_e64 v49, v45, v192
	v_add_f16_e64 v185, v192, v198
	v_add_f16_e32 v40, v26, v1
	v_add_f16_e64 v43, v44, v193
	v_sub_f16_e64 v46, v193, v199
	v_sub_f16_e64 v186, v192, v198
	v_add_f16_e64 v188, v9, v27
	v_add_f16_e64 v189, v39, v9
	;; [unrolled: 1-line block ×4, first 2 shown]
	v_sub_f16_e64 v192, v203, v207
	v_add_f16_e64 v193, v6, v14
	v_add_f16_e64 v195, v38, v6
	;; [unrolled: 1-line block ×4, first 2 shown]
	v_sub_f16_e64 v201, v202, v206
	v_add_f16_e64 v202, v194, v208
	v_sub_f16_e64 v203, v208, v209
	v_add_f16_e64 v204, v208, v209
	v_add_f16_e64 v208, v28, v7
	;; [unrolled: 1-line block ×4, first 2 shown]
	v_sub_f16_e32 v1, v1, v11
	v_sub_f16_e32 v0, v0, v10
	v_fmac_f16_e32 v26, -0.5, v37
	v_fmac_f16_e32 v44, -0.5, v41
	v_fma_f16 v25, -0.5, v47, v25
	v_add_f16_e32 v10, v48, v10
	v_add_f16_e64 v37, v49, v198
	v_fmac_f16_e64 v45, -0.5, v185
	v_add_f16_e64 v210, v35, v36
	v_sub_f16_e32 v9, v9, v27
	v_sub_f16_e32 v6, v6, v14
	v_add_f16_e64 v205, v34, v28
	v_sub_f16_e32 v28, v28, v7
	v_sub_f16_e32 v36, v36, v8
	v_add_f16_e64 v212, v196, v213
	v_sub_f16_e64 v213, v213, v215
	v_add_f16_e32 v11, v40, v11
	v_add_f16_e64 v40, v43, v199
	v_fmac_f16_e64 v39, -0.5, v188
	v_fmac_f16_e64 v181, -0.5, v190
	v_fma_f16 v38, -0.5, v193, v38
	v_add_f16_e64 v41, v197, v206
	v_add_f16_e64 v14, v195, v14
	v_fmac_f16_e64 v183, -0.5, v200
	v_add_f16_e64 v27, v189, v27
	v_add_f16_e64 v43, v191, v207
	v_fmac_f16_e64 v194, -0.5, v204
	v_fma_f16 v195, -0.5, v208, v34
	v_fmac_f16_e64 v35, -0.5, v211
	v_fmac_f16_e64 v196, -0.5, v214
	v_fmamk_f16 v34, v1, 0xbaee, v44
	v_fmac_f16_e32 v44, 0x3aee, v1
	v_pack_b32_f16 v1, v10, v37
	v_fma_f16 v10, 0x3aee, v186, v25
	v_fmamk_f16 v37, v0, 0xbaee, v45
	v_fmac_f16_e64 v25, 0xbaee, v186
	v_fmac_f16_e32 v45, 0x3aee, v0
	v_add_f16_e64 v197, v210, v8
	v_fmamk_f16 v8, v46, 0x3aee, v26
	v_fmac_f16_e32 v26, 0xbaee, v46
	v_pack_b32_f16 v0, v11, v40
	v_fma_f16 v11, 0x3aee, v192, v39
	v_fmac_f16_e64 v39, 0xbaee, v192
	v_fma_f16 v40, 0xbaee, v9, v181
	v_fmac_f16_e64 v181, 0x3aee, v9
	v_pack_b32_f16 v9, v14, v41
	v_fma_f16 v14, 0x3aee, v201, v38
	v_fma_f16 v41, 0xbaee, v6, v183
	v_fmac_f16_e64 v38, 0xbaee, v201
	v_fmac_f16_e64 v183, 0x3aee, v6
	v_pack_b32_f16 v6, v27, v43
	v_fma_f16 v27, 0x3aee, v203, v195
	v_fma_f16 v43, 0xbaee, v28, v194
	v_fmac_f16_e64 v195, 0xbaee, v203
	v_fmac_f16_e64 v194, 0x3aee, v28
	v_fma_f16 v199, 0x3aee, v213, v35
	v_fma_f16 v200, 0xbaee, v36, v196
	v_fmac_f16_e64 v35, 0xbaee, v213
	v_fmac_f16_e64 v196, 0x3aee, v36
	v_add_f16_e64 v47, v202, v209
	v_add_f16_e64 v7, v205, v7
	;; [unrolled: 1-line block ×3, first 2 shown]
	v_pack_b32_f16 v10, v10, v37
	v_pack_b32_f16 v25, v25, v45
	;; [unrolled: 1-line block ×14, first 2 shown]
	ds_store_2addr_b32 v136, v1, v10 offset1:96
	ds_store_b32 v136, v25 offset:768
	ds_store_2addr_b32 v110, v0, v8 offset1:96
	ds_store_b32 v110, v26 offset:768
	ds_store_2addr_b32 v111, v9, v14 offset1:96
	ds_store_b32 v111, v36 offset:768
	ds_store_2addr_b32 v105, v6, v11 offset1:96
	ds_store_b32 v105, v34 offset:768
	ds_store_2addr_b32 v106, v7, v27 offset1:96
	ds_store_b32 v106, v37 offset:768
	ds_store_2addr_b32 v107, v28, v38 offset1:96
	ds_store_b32 v107, v39 offset:768
	global_wb scope:SCOPE_SE
	s_wait_dscnt 0x0
	s_wait_kmcnt 0x0
	s_barrier_signal -1
	s_barrier_wait -1
	global_inv scope:SCOPE_SE
	ds_load_2addr_b32 v[48:49], v33 offset0:32 offset1:144
	ds_load_2addr_b32 v[46:47], v42 offset0:64 offset1:176
	;; [unrolled: 1-line block ×6, first 2 shown]
	ds_load_2addr_b32 v[36:37], v61 offset1:112
	v_add_co_u32 v33, s0, s8, v3
	s_wait_alu 0xf1ff
	v_add_co_ci_u32_e64 v34, null, s9, 0, s0
                                        ; implicit-def: $vgpr201
                                        ; implicit-def: $vgpr204
                                        ; implicit-def: $vgpr203
                                        ; implicit-def: $vgpr205
                                        ; implicit-def: $vgpr202
                                        ; implicit-def: $vgpr206
	s_and_saveexec_b32 s0, vcc_lo
	s_cbranch_execz .LBB0_3
; %bb.2:
	ds_load_b32 v195, v61 offset:896
	ds_load_b32 v197, v61 offset:2048
	;; [unrolled: 1-line block ×7, first 2 shown]
	s_wait_dscnt 0x6
	v_lshrrev_b32_e32 v194, 16, v195
	s_wait_dscnt 0x5
	v_lshrrev_b32_e32 v198, 16, v197
	;; [unrolled: 2-line block ×7, first 2 shown]
.LBB0_3:
	s_wait_alu 0xfffe
	s_or_b32 exec_lo, exec_lo, s0
	v_mad_co_u64_u32 v[0:1], null, v78, 24, s[10:11]
	s_wait_dscnt 0x6
	v_lshrrev_b32_e32 v208, 16, v48
	s_wait_dscnt 0x5
	v_lshrrev_b32_e32 v209, 16, v46
	;; [unrolled: 2-line block ×6, first 2 shown]
	s_clause 0x3
	global_load_b128 v[8:11], v[0:1], off offset:1144
	global_load_b64 v[25:26], v[0:1], off offset:1160
	global_load_b128 v[4:7], v[0:1], off offset:3832
	global_load_b64 v[27:28], v[0:1], off offset:3848
	v_subrev_nc_u32_e32 v0, 64, v78
	v_lshrrev_b32_e32 v215, 16, v49
	v_lshrrev_b32_e32 v216, 16, v47
	;; [unrolled: 1-line block ×4, first 2 shown]
	v_cndmask_b32_e32 v0, v0, v13, vcc_lo
	v_lshrrev_b32_e32 v219, 16, v41
	v_lshrrev_b32_e32 v220, 16, v39
	s_wait_dscnt 0x0
	v_lshrrev_b32_e32 v207, 16, v36
	v_lshrrev_b32_e32 v214, 16, v37
	v_mul_i32_i24_e32 v1, 24, v0
	v_mul_hi_i32_i24_e32 v0, 24, v0
	v_lshl_add_u32 v100, v78, 2, v100
	s_delay_alu instid0(VALU_DEP_3) | instskip(SKIP_1) | instid1(VALU_DEP_3)
	v_add_co_u32 v13, s0, s10, v1
	s_wait_alu 0xf1ff
	v_add_co_ci_u32_e64 v14, s0, s11, v0, s0
	s_clause 0x1
	global_load_b128 v[0:3], v[13:14], off offset:1144
	global_load_b64 v[13:14], v[13:14], off offset:1160
	s_wait_loadcnt 0x5
	v_lshrrev_b32_e32 v193, 16, v8
	v_lshrrev_b32_e32 v192, 16, v9
	;; [unrolled: 1-line block ×4, first 2 shown]
	s_wait_loadcnt 0x4
	v_lshrrev_b32_e32 v189, 16, v25
	v_lshrrev_b32_e32 v188, 16, v26
	s_wait_loadcnt 0x3
	v_lshrrev_b32_e32 v186, 16, v4
	v_lshrrev_b32_e32 v185, 16, v5
	;; [unrolled: 1-line block ×4, first 2 shown]
	s_wait_loadcnt 0x2
	v_lshrrev_b32_e32 v180, 16, v27
	v_lshrrev_b32_e32 v179, 16, v28
	v_mul_f16_e64 v221, v208, v193
	v_mul_f16_e64 v222, v48, v193
	;; [unrolled: 1-line block ×24, first 2 shown]
	v_fma_f16 v48, v48, v8, -v221
	v_fmac_f16_e64 v222, v208, v8
	v_fma_f16 v46, v46, v9, -v223
	v_fmac_f16_e64 v224, v209, v9
	;; [unrolled: 2-line block ×12, first 2 shown]
	s_wait_loadcnt 0x1
	v_lshrrev_b32_e32 v42, 16, v0
	v_lshrrev_b32_e32 v40, 16, v1
	s_wait_loadcnt 0x0
	v_lshrrev_b32_e32 v41, 16, v13
	v_lshrrev_b32_e32 v43, 16, v14
	;; [unrolled: 1-line block ×4, first 2 shown]
	v_add_f16_e64 v215, v48, v210
	v_add_f16_e64 v216, v222, v232
	v_sub_f16_e64 v48, v48, v210
	v_sub_f16_e64 v210, v222, v232
	v_add_f16_e64 v217, v46, v209
	v_add_f16_e64 v218, v224, v230
	v_sub_f16_e64 v46, v46, v209
	v_sub_f16_e64 v209, v224, v230
	;; [unrolled: 4-line block ×6, first 2 shown]
	v_mul_f16_e64 v227, v198, v42
	v_mul_f16_e64 v228, v197, v42
	;; [unrolled: 1-line block ×12, first 2 shown]
	v_add_f16_e64 v239, v217, v215
	v_add_f16_e64 v240, v218, v216
	v_sub_f16_e64 v241, v217, v215
	v_sub_f16_e64 v242, v218, v216
	;; [unrolled: 1-line block ×4, first 2 shown]
	v_add_f16_e64 v243, v44, v46
	v_add_f16_e64 v244, v208, v209
	v_sub_f16_e64 v245, v44, v46
	v_sub_f16_e64 v246, v208, v209
	v_sub_f16_e32 v46, v46, v48
	v_sub_f16_e64 v209, v209, v210
	v_add_f16_e64 v247, v223, v221
	v_add_f16_e64 v248, v224, v222
	v_sub_f16_e64 v249, v223, v221
	v_sub_f16_e64 v250, v224, v222
	;; [unrolled: 1-line block ×5, first 2 shown]
	v_add_f16_e64 v252, v211, v212
	v_sub_f16_e64 v253, v45, v47
	v_sub_f16_e64 v254, v211, v212
	;; [unrolled: 1-line block ×3, first 2 shown]
	v_fma_f16 v197, v197, v0, -v227
	v_fmac_f16_e64 v228, v198, v0
	v_fma_f16 v198, v199, v1, -v229
	v_fmac_f16_e64 v230, v200, v1
	;; [unrolled: 2-line block ×4, first 2 shown]
	v_sub_f16_e64 v217, v219, v217
	v_sub_f16_e64 v218, v220, v218
	v_sub_f16_e32 v44, v48, v44
	v_sub_f16_e64 v208, v210, v208
	v_sub_f16_e64 v221, v221, v225
	v_add_f16_e64 v251, v45, v47
	v_sub_f16_e64 v211, v213, v211
	v_sub_f16_e32 v47, v47, v49
	v_fma_f16 v35, v35, v2, -v231
	v_fmac_f16_e64 v232, v196, v2
	v_fma_f16 v196, v202, v3, -v233
	v_fmac_f16_e64 v234, v206, v3
	v_add_f16_e64 v201, v219, v239
	v_add_f16_e64 v202, v220, v240
	v_mul_f16_e64 v204, 0x3a52, v215
	v_mul_f16_e64 v205, 0x3a52, v216
	;; [unrolled: 1-line block ×6, first 2 shown]
	v_add_f16_e64 v225, v225, v247
	v_add_f16_e64 v226, v226, v248
	v_mul_f16_e64 v222, 0x3a52, v222
	v_mul_f16_e64 v227, 0x2b26, v223
	;; [unrolled: 1-line block ×6, first 2 shown]
	v_add_f16_e64 v239, v197, v200
	v_add_f16_e64 v240, v228, v238
	v_sub_f16_e64 v197, v197, v200
	v_sub_f16_e64 v200, v228, v238
	v_add_f16_e64 v228, v198, v199
	v_add_f16_e64 v238, v230, v236
	v_sub_f16_e32 v45, v49, v45
	v_add_f16_e64 v48, v243, v48
	v_add_f16_e64 v203, v244, v210
	v_mul_f16_e64 v206, 0x2b26, v217
	v_mul_f16_e64 v210, 0x2b26, v218
	v_add_f16_e64 v213, v252, v213
	v_mul_f16_e64 v221, 0x3a52, v221
	v_mul_f16_e64 v235, 0x3b00, v47
	v_sub_f16_e64 v198, v198, v199
	v_sub_f16_e64 v199, v230, v236
	v_add_f16_e64 v230, v35, v196
	v_add_f16_e64 v236, v232, v234
	v_sub_f16_e64 v35, v196, v35
	v_sub_f16_e64 v196, v234, v232
	v_add_f16_e64 v36, v36, v201
	v_add_f16_e64 v207, v207, v202
	v_fma_f16 v232, 0x3574, v44, v215
	v_fma_f16 v234, 0x3574, v208, v216
	v_fma_f16 v46, v46, 0x3b00, -v215
	v_fma_f16 v209, v209, 0x3b00, -v216
	;; [unrolled: 1-line block ×4, first 2 shown]
	v_add_f16_e64 v37, v37, v225
	v_add_f16_e64 v214, v214, v226
	v_fma_f16 v216, 0x2b26, v224, v222
	v_fma_f16 v219, v249, 0x39e0, -v227
	v_fma_f16 v220, v250, 0x39e0, -v229
	v_fma_f16 v224, 0x3574, v211, v233
	v_fma_f16 v227, v47, 0x3b00, -v231
	v_fma_f16 v212, v212, 0x3b00, -v233
	;; [unrolled: 1-line block ×3, first 2 shown]
	v_add_f16_e64 v47, v228, v239
	v_add_f16_e64 v229, v238, v240
	;; [unrolled: 1-line block ×3, first 2 shown]
	v_fma_f16 v217, 0x2b26, v217, v204
	v_fma_f16 v218, 0x2b26, v218, v205
	v_fma_f16 v206, v241, 0x39e0, -v206
	v_fma_f16 v210, v242, 0x39e0, -v210
	;; [unrolled: 1-line block ×4, first 2 shown]
	v_fma_f16 v215, 0x2b26, v223, v221
	v_fma_f16 v221, v249, 0xb9e0, -v221
	v_fma_f16 v222, v250, 0xb9e0, -v222
	v_fma_f16 v223, 0x3574, v45, v231
	v_fma_f16 v45, v45, 0xb574, -v235
	v_sub_f16_e64 v231, v228, v239
	v_sub_f16_e64 v233, v238, v240
	v_sub_f16_e64 v235, v239, v230
	v_sub_f16_e64 v237, v240, v236
	v_sub_f16_e64 v228, v230, v228
	v_sub_f16_e64 v238, v236, v238
	v_add_f16_e64 v239, v35, v198
	v_add_f16_e64 v240, v196, v199
	v_sub_f16_e64 v241, v35, v198
	v_sub_f16_e64 v242, v196, v199
	;; [unrolled: 1-line block ×4, first 2 shown]
	v_fma_f16 v201, 0xbcab, v201, v36
	v_fma_f16 v202, 0xbcab, v202, v207
	v_fmac_f16_e64 v232, 0x370e, v48
	v_fmac_f16_e64 v234, 0x370e, v203
	v_fmac_f16_e32 v46, 0x370e, v48
	v_fmac_f16_e64 v209, 0x370e, v203
	v_fmac_f16_e32 v44, 0x370e, v48
	v_fmac_f16_e64 v208, 0x370e, v203
	v_fma_f16 v48, 0xbcab, v225, v37
	v_fma_f16 v203, 0xbcab, v226, v214
	v_fmac_f16_e64 v224, 0x370e, v213
	v_fmac_f16_e64 v212, 0x370e, v213
	;; [unrolled: 1-line block ×3, first 2 shown]
	v_pack_b32_f16 v36, v36, v207
	v_add_f16_e64 v207, v230, v47
	v_add_f16_e64 v213, v236, v229
	v_sub_f16_e64 v35, v197, v35
	v_sub_f16_e64 v196, v200, v196
	v_fmac_f16_e64 v223, 0x370e, v49
	v_fmac_f16_e64 v227, 0x370e, v49
	v_fmac_f16_e32 v45, 0x370e, v49
	v_pack_b32_f16 v37, v37, v214
	v_add_f16_e64 v214, v239, v197
	v_mul_f16_e64 v49, 0x3a52, v235
	v_mul_f16_e64 v197, 0x3a52, v237
	;; [unrolled: 1-line block ×8, first 2 shown]
	v_add_f16_e64 v217, v217, v201
	v_add_f16_e64 v218, v218, v202
	;; [unrolled: 1-line block ×15, first 2 shown]
	v_fma_f16 v220, 0x2b26, v228, v49
	v_fma_f16 v221, 0x2b26, v238, v197
	v_fma_f16 v222, v231, 0x39e0, -v225
	v_fma_f16 v225, v233, 0x39e0, -v226
	v_fma_f16 v226, v231, 0xb9e0, -v49
	v_fma_f16 v228, v233, 0xb9e0, -v197
	v_fma_f16 v195, 0x3574, v35, v229
	v_fma_f16 v49, 0x3574, v196, v230
	v_fma_f16 v197, v198, 0x3b00, -v229
	v_fma_f16 v194, v199, 0x3b00, -v230
	;; [unrolled: 1-line block ×4, first 2 shown]
	v_add_f16_e64 v35, v234, v217
	v_sub_f16_e64 v199, v218, v232
	v_add_f16_e64 v229, v208, v201
	v_sub_f16_e64 v230, v202, v44
	v_sub_f16_e64 v231, v206, v209
	v_add_f16_e64 v233, v46, v210
	v_add_f16_e64 v206, v209, v206
	v_sub_f16_e64 v46, v210, v46
	v_sub_f16_e64 v201, v201, v208
	v_add_f16_e64 v44, v44, v202
	v_sub_f16_e64 v202, v217, v234
	v_add_f16_e64 v208, v232, v218
	v_add_f16_e64 v209, v224, v204
	v_sub_f16_e64 v210, v205, v223
	v_sub_f16_e64 v218, v203, v45
	;; [unrolled: 1-line block ×3, first 2 shown]
	v_add_f16_e64 v212, v212, v215
	v_sub_f16_e64 v215, v216, v227
	v_add_f16_e64 v45, v45, v203
	v_sub_f16_e64 v203, v204, v224
	v_add_f16_e64 v204, v223, v205
	v_fma_f16 v205, 0xbcab, v207, v47
	v_fma_f16 v207, 0xbcab, v213, v48
	v_add_f16_e64 v217, v211, v219
	v_sub_f16_e64 v211, v219, v211
	v_fmac_f16_e64 v195, 0x370e, v214
	v_fmac_f16_e64 v49, 0x370e, v200
	;; [unrolled: 1-line block ×6, first 2 shown]
	v_pack_b32_f16 v35, v35, v199
	v_pack_b32_f16 v46, v206, v46
	;; [unrolled: 1-line block ×6, first 2 shown]
	v_add_f16_e64 v199, v220, v205
	v_add_f16_e64 v202, v221, v207
	;; [unrolled: 1-line block ×7, first 2 shown]
	v_pack_b32_f16 v213, v229, v230
	v_pack_b32_f16 v214, v231, v233
	;; [unrolled: 1-line block ×5, first 2 shown]
	ds_store_b32 v100, v35 offset:1152
	ds_store_b32 v100, v213 offset:2304
	;; [unrolled: 1-line block ×6, first 2 shown]
	ds_store_2addr_b32 v61, v36, v37 offset1:112
	ds_store_b32 v100, v208 offset:1600
	v_add_f16_e64 v35, v194, v200
	v_sub_f16_e64 v37, v203, v197
	v_sub_f16_e64 v36, v201, v196
	v_add_f16_e64 v44, v198, v204
	v_sub_f16_e64 v45, v199, v49
	v_add_f16_e64 v46, v195, v202
	v_pack_b32_f16 v210, v232, v234
	ds_store_b32 v100, v209 offset:2752
	ds_store_b32 v100, v210 offset:3904
	;; [unrolled: 1-line block ×5, first 2 shown]
	s_and_saveexec_b32 s0, vcc_lo
	s_cbranch_execz .LBB0_5
; %bb.4:
	v_sub_f16_e64 v195, v202, v195
	v_perm_b32 v47, v48, v47, 0x5040100
	v_add_f16_e64 v48, v49, v199
	v_sub_f16_e64 v198, v204, v198
	v_add_f16_e64 v49, v196, v201
	v_add_f16_e64 v197, v197, v203
	v_sub_f16_e64 v194, v200, v194
	ds_store_b32 v61, v47 offset:896
	v_pack_b32_f16 v47, v48, v195
	v_pack_b32_f16 v48, v49, v198
	v_perm_b32 v195, v44, v36, 0x5040100
	v_pack_b32_f16 v49, v194, v197
	v_perm_b32 v194, v37, v35, 0x5040100
	v_perm_b32 v196, v46, v45, 0x5040100
	ds_store_b32 v100, v47 offset:2048
	ds_store_b32 v100, v48 offset:3200
	;; [unrolled: 1-line block ×6, first 2 shown]
.LBB0_5:
	s_wait_alu 0xfffe
	s_or_b32 exec_lo, exec_lo, s0
	global_wb scope:SCOPE_SE
	s_wait_dscnt 0x0
	s_barrier_signal -1
	s_barrier_wait -1
	global_inv scope:SCOPE_SE
	global_load_b32 v47, v[33:34], off offset:8064
	v_lshlrev_b32_e32 v194, 2, v78
	s_add_nc_u64 s[0:1], s[8:9], 0x1f80
	s_clause 0x6
	global_load_b32 v48, v194, s[0:1] offset:448
	global_load_b32 v195, v194, s[0:1] offset:896
	global_load_b32 v196, v194, s[0:1] offset:1344
	global_load_b32 v197, v194, s[0:1] offset:1792
	global_load_b32 v198, v194, s[0:1] offset:2240
	global_load_b32 v199, v194, s[0:1] offset:2688
	global_load_b32 v200, v194, s[0:1] offset:3136
	ds_load_2addr_b32 v[33:34], v61 offset1:112
	s_wait_dscnt 0x0
	v_lshrrev_b32_e32 v201, 16, v33
	s_wait_loadcnt 0x7
	v_lshrrev_b32_e32 v49, 16, v47
	s_delay_alu instid0(VALU_DEP_1) | instskip(NEXT) | instid1(VALU_DEP_3)
	v_mul_f16_e64 v202, v33, v49
	v_mul_f16_e64 v49, v201, v49
	s_delay_alu instid0(VALU_DEP_2) | instskip(NEXT) | instid1(VALU_DEP_2)
	v_fmac_f16_e64 v202, v201, v47
	v_fma_f16 v201, v33, v47, -v49
	v_lshrrev_b32_e32 v33, 16, v34
	s_wait_loadcnt 0x6
	v_lshrrev_b32_e32 v47, 16, v48
	s_delay_alu instid0(VALU_DEP_1) | instskip(SKIP_2) | instid1(VALU_DEP_3)
	v_mul_f16_e32 v49, v33, v47
	v_mul_f16_e64 v203, v34, v47
	v_add_nc_u32_e32 v47, 0x1000, v61
	v_fma_f16 v204, v34, v48, -v49
	s_delay_alu instid0(VALU_DEP_3)
	v_fmac_f16_e64 v203, v33, v48
	s_clause 0x5
	global_load_b32 v48, v194, s[0:1] offset:4480
	global_load_b32 v49, v194, s[0:1] offset:4928
	;; [unrolled: 1-line block ×6, first 2 shown]
	ds_load_2addr_b32 v[33:34], v47 offset0:96 offset1:208
	global_load_b32 v209, v194, s[0:1] offset:4032
	s_wait_dscnt 0x0
	v_lshrrev_b32_e32 v211, 16, v33
	s_wait_loadcnt 0x6
	v_lshrrev_b32_e32 v210, 16, v48
	s_delay_alu instid0(VALU_DEP_1) | instskip(NEXT) | instid1(VALU_DEP_3)
	v_mul_f16_e64 v212, v33, v210
	v_mul_f16_e64 v210, v211, v210
	s_delay_alu instid0(VALU_DEP_2) | instskip(NEXT) | instid1(VALU_DEP_2)
	v_fmac_f16_e64 v212, v211, v48
	v_fma_f16 v210, v33, v48, -v210
	s_wait_loadcnt 0x5
	v_lshrrev_b32_e32 v48, 16, v49
	v_lshrrev_b32_e32 v33, 16, v34
	s_delay_alu instid0(VALU_DEP_2) | instskip(NEXT) | instid1(VALU_DEP_2)
	v_mul_f16_e64 v213, v34, v48
	v_mul_f16_e64 v211, v33, v48
	s_delay_alu instid0(VALU_DEP_2) | instskip(SKIP_1) | instid1(VALU_DEP_3)
	v_fmac_f16_e64 v213, v33, v49
	v_add_nc_u32_e32 v33, 0x200, v61
	v_fma_f16 v211, v34, v49, -v211
	v_lshrrev_b32_e32 v34, 16, v195
	ds_load_2addr_b32 v[48:49], v33 offset0:96 offset1:208
	s_wait_dscnt 0x0
	v_lshrrev_b32_e32 v214, 16, v48
	v_mul_f16_e64 v215, v48, v34
	s_delay_alu instid0(VALU_DEP_2) | instskip(NEXT) | instid1(VALU_DEP_2)
	v_mul_f16_e64 v34, v214, v34
	v_fmac_f16_e64 v215, v214, v195
	s_delay_alu instid0(VALU_DEP_2) | instskip(SKIP_2) | instid1(VALU_DEP_1)
	v_fma_f16 v214, v48, v195, -v34
	v_lshrrev_b32_e32 v34, 16, v49
	v_lshrrev_b32_e32 v48, 16, v196
	v_mul_f16_e64 v195, v34, v48
	v_mul_f16_e64 v216, v49, v48
	s_delay_alu instid0(VALU_DEP_2) | instskip(SKIP_1) | instid1(VALU_DEP_3)
	v_fma_f16 v217, v49, v196, -v195
	v_add_nc_u32_e32 v195, 0x1400, v61
	v_fmac_f16_e64 v216, v34, v196
	s_wait_loadcnt 0x4
	v_lshrrev_b32_e32 v34, 16, v205
	ds_load_2addr_b32 v[48:49], v195 offset0:64 offset1:176
	s_wait_dscnt 0x0
	v_lshrrev_b32_e32 v196, 16, v48
	v_mul_f16_e64 v218, v48, v34
	s_delay_alu instid0(VALU_DEP_2) | instskip(NEXT) | instid1(VALU_DEP_2)
	v_mul_f16_e64 v34, v196, v34
	v_fmac_f16_e64 v218, v196, v205
	s_delay_alu instid0(VALU_DEP_2) | instskip(SKIP_3) | instid1(VALU_DEP_2)
	v_fma_f16 v205, v48, v205, -v34
	s_wait_loadcnt 0x3
	v_lshrrev_b32_e32 v48, 16, v206
	v_lshrrev_b32_e32 v34, 16, v49
	v_mul_f16_e64 v219, v49, v48
	s_delay_alu instid0(VALU_DEP_2) | instskip(NEXT) | instid1(VALU_DEP_2)
	v_mul_f16_e64 v196, v34, v48
	v_fmac_f16_e64 v219, v34, v206
	v_add_nc_u32_e32 v34, 0x600, v61
	s_delay_alu instid0(VALU_DEP_3)
	v_fma_f16 v220, v49, v206, -v196
	v_lshrrev_b32_e32 v196, 16, v197
	ds_load_2addr_b32 v[48:49], v34 offset0:64 offset1:176
	s_wait_dscnt 0x0
	v_lshrrev_b32_e32 v206, 16, v48
	v_mul_f16_e64 v221, v48, v196
	s_delay_alu instid0(VALU_DEP_2) | instskip(NEXT) | instid1(VALU_DEP_2)
	v_mul_f16_e64 v196, v206, v196
	v_fmac_f16_e64 v221, v206, v197
	s_delay_alu instid0(VALU_DEP_2) | instskip(SKIP_2) | instid1(VALU_DEP_1)
	v_fma_f16 v206, v48, v197, -v196
	v_lshrrev_b32_e32 v48, 16, v49
	v_lshrrev_b32_e32 v196, 16, v198
	v_mul_f16_e64 v197, v48, v196
	v_mul_f16_e64 v222, v49, v196
	s_delay_alu instid0(VALU_DEP_2) | instskip(SKIP_1) | instid1(VALU_DEP_3)
	v_fma_f16 v223, v49, v198, -v197
	v_add_nc_u32_e32 v49, 0x1800, v61
	v_fmac_f16_e64 v222, v48, v198
	s_wait_loadcnt 0x2
	v_lshrrev_b32_e32 v48, 16, v207
	ds_load_2addr_b32 v[196:197], v49 offset0:32 offset1:144
	s_wait_dscnt 0x0
	v_lshrrev_b32_e32 v198, 16, v196
	v_mul_f16_e64 v224, v196, v48
	s_delay_alu instid0(VALU_DEP_2) | instskip(NEXT) | instid1(VALU_DEP_2)
	v_mul_f16_e64 v48, v198, v48
	v_fmac_f16_e64 v224, v198, v207
	s_delay_alu instid0(VALU_DEP_2) | instskip(SKIP_3) | instid1(VALU_DEP_1)
	v_fma_f16 v207, v196, v207, -v48
	v_lshrrev_b32_e32 v48, 16, v197
	s_wait_loadcnt 0x1
	v_lshrrev_b32_e32 v196, 16, v208
	v_mul_f16_e64 v198, v48, v196
	v_mul_f16_e64 v225, v197, v196
	v_add_nc_u32_e32 v196, 0xa00, v61
	s_delay_alu instid0(VALU_DEP_3) | instskip(NEXT) | instid1(VALU_DEP_3)
	v_fma_f16 v226, v197, v208, -v198
	v_fmac_f16_e64 v225, v48, v208
	ds_load_2addr_b32 v[197:198], v196 offset0:32 offset1:144
	v_lshrrev_b32_e32 v48, 16, v199
	s_wait_dscnt 0x0
	v_lshrrev_b32_e32 v208, 16, v197
	s_delay_alu instid0(VALU_DEP_2) | instskip(NEXT) | instid1(VALU_DEP_2)
	v_mul_f16_e64 v227, v197, v48
	v_mul_f16_e64 v48, v208, v48
	s_delay_alu instid0(VALU_DEP_2) | instskip(NEXT) | instid1(VALU_DEP_2)
	v_fmac_f16_e64 v227, v208, v199
	v_fma_f16 v199, v197, v199, -v48
	v_lshrrev_b32_e32 v48, 16, v198
	v_lshrrev_b32_e32 v197, 16, v200
	s_delay_alu instid0(VALU_DEP_3) | instskip(NEXT) | instid1(VALU_DEP_2)
	v_pack_b32_f16 v199, v199, v227
	v_mul_f16_e64 v208, v48, v197
	v_mul_f16_e64 v228, v198, v197
	s_delay_alu instid0(VALU_DEP_2) | instskip(NEXT) | instid1(VALU_DEP_2)
	v_fma_f16 v208, v198, v200, -v208
	v_fmac_f16_e64 v228, v48, v200
	global_load_b32 v200, v194, s[0:1] offset:3584
	v_add_nc_u32_e32 v48, 0xc00, v61
	s_wait_loadcnt 0x1
	v_lshrrev_b32_e32 v229, 16, v209
	ds_load_2addr_b32 v[197:198], v48 offset0:128 offset1:240
	s_wait_dscnt 0x0
	v_lshrrev_b32_e32 v230, 16, v198
	v_mul_f16_e64 v231, v198, v229
	s_delay_alu instid0(VALU_DEP_2) | instskip(NEXT) | instid1(VALU_DEP_2)
	v_mul_f16_e64 v229, v230, v229
	v_fmac_f16_e64 v231, v230, v209
	s_delay_alu instid0(VALU_DEP_2) | instskip(SKIP_3) | instid1(VALU_DEP_1)
	v_fma_f16 v209, v198, v209, -v229
	v_lshrrev_b32_e32 v198, 16, v197
	s_wait_loadcnt 0x0
	v_lshrrev_b32_e32 v229, 16, v200
	v_mul_f16_e64 v230, v198, v229
	v_mul_f16_e64 v229, v197, v229
	s_delay_alu instid0(VALU_DEP_2) | instskip(NEXT) | instid1(VALU_DEP_2)
	v_fma_f16 v230, v197, v200, -v230
	v_fmac_f16_e64 v229, v198, v200
	s_clause 0x1
	global_load_b32 v200, v194, s[0:1] offset:7168
	global_load_b32 v232, v194, s[0:1] offset:7616
	v_add_nc_u32_e32 v194, 0x1c00, v61
	ds_load_2addr_b32 v[197:198], v194 offset1:112
	s_wait_dscnt 0x0
	v_lshrrev_b32_e32 v234, 16, v197
	s_wait_loadcnt 0x1
	v_lshrrev_b32_e32 v233, 16, v200
	s_delay_alu instid0(VALU_DEP_1) | instskip(NEXT) | instid1(VALU_DEP_3)
	v_mul_f16_e64 v235, v197, v233
	v_mul_f16_e64 v233, v234, v233
	s_delay_alu instid0(VALU_DEP_2) | instskip(NEXT) | instid1(VALU_DEP_2)
	v_fmac_f16_e64 v235, v234, v200
	v_fma_f16 v197, v197, v200, -v233
	v_lshrrev_b32_e32 v200, 16, v198
	s_wait_loadcnt 0x0
	v_lshrrev_b32_e32 v233, 16, v232
	s_delay_alu instid0(VALU_DEP_3) | instskip(NEXT) | instid1(VALU_DEP_2)
	v_pack_b32_f16 v197, v197, v235
	v_mul_f16_e64 v234, v200, v233
	v_mul_f16_e64 v233, v198, v233
	s_delay_alu instid0(VALU_DEP_2) | instskip(NEXT) | instid1(VALU_DEP_2)
	v_fma_f16 v198, v198, v232, -v234
	v_fmac_f16_e64 v233, v200, v232
	v_pack_b32_f16 v200, v201, v202
	v_pack_b32_f16 v201, v204, v203
	s_delay_alu instid0(VALU_DEP_3)
	v_pack_b32_f16 v198, v198, v233
	ds_store_2addr_b32 v61, v200, v201 offset1:112
	v_pack_b32_f16 v200, v210, v212
	v_pack_b32_f16 v201, v211, v213
	ds_store_2addr_b32 v194, v197, v198 offset1:112
	ds_store_2addr_b32 v47, v200, v201 offset0:96 offset1:208
	v_pack_b32_f16 v200, v214, v215
	v_pack_b32_f16 v201, v217, v216
	ds_store_2addr_b32 v33, v200, v201 offset0:96 offset1:208
	v_pack_b32_f16 v200, v205, v218
	v_pack_b32_f16 v201, v220, v219
	;; [unrolled: 3-line block ×4, first 2 shown]
	ds_store_2addr_b32 v49, v200, v201 offset0:32 offset1:144
	v_pack_b32_f16 v200, v208, v228
	ds_store_2addr_b32 v196, v199, v200 offset0:32 offset1:144
	v_pack_b32_f16 v199, v209, v231
	v_pack_b32_f16 v200, v230, v229
	ds_store_2addr_b32 v48, v200, v199 offset0:128 offset1:240
	global_wb scope:SCOPE_SE
	s_wait_dscnt 0x0
	s_barrier_signal -1
	s_barrier_wait -1
	global_inv scope:SCOPE_SE
	ds_load_2addr_b32 v[197:198], v61 offset1:112
	ds_load_2addr_b32 v[199:200], v48 offset0:128 offset1:240
	ds_load_2addr_b32 v[202:203], v47 offset0:96 offset1:208
	;; [unrolled: 1-line block ×7, first 2 shown]
	ds_load_2addr_b32 v[214:215], v194 offset1:112
	global_wb scope:SCOPE_SE
	s_wait_dscnt 0x0
	s_barrier_signal -1
	s_barrier_wait -1
	global_inv scope:SCOPE_SE
	v_pk_add_f16 v201, v197, v200 neg_lo:[0,1] neg_hi:[0,1]
	s_delay_alu instid0(VALU_DEP_1) | instskip(SKIP_2) | instid1(VALU_DEP_1)
	v_pk_fma_f16 v200, v197, 2.0, v201 op_sel_hi:[1,0,1] neg_lo:[0,0,1] neg_hi:[0,0,1]
	ds_store_b64 v91, v[200:201]
	v_pk_add_f16 v201, v198, v202 neg_lo:[0,1] neg_hi:[0,1]
	v_pk_fma_f16 v200, v198, 2.0, v201 op_sel_hi:[1,0,1] neg_lo:[0,0,1] neg_hi:[0,0,1]
	v_pk_add_f16 v198, v204, v203 neg_lo:[0,1] neg_hi:[0,1]
	ds_store_b64 v94, v[200:201]
	v_pk_fma_f16 v197, v204, 2.0, v198 op_sel_hi:[1,0,1] neg_lo:[0,0,1] neg_hi:[0,0,1]
	v_pk_add_f16 v94, v205, v206 neg_lo:[0,1] neg_hi:[0,1]
	ds_store_b64 v93, v[197:198]
	v_pk_fma_f16 v93, v205, 2.0, v94 op_sel_hi:[1,0,1] neg_lo:[0,0,1] neg_hi:[0,0,1]
	ds_store_b64 v92, v[93:94]
	v_pk_add_f16 v92, v208, v207 neg_lo:[0,1] neg_hi:[0,1]
	s_delay_alu instid0(VALU_DEP_1) | instskip(SKIP_2) | instid1(VALU_DEP_1)
	v_pk_fma_f16 v91, v208, 2.0, v92 op_sel_hi:[1,0,1] neg_lo:[0,0,1] neg_hi:[0,0,1]
	ds_store_b64 v97, v[91:92]
	v_pk_add_f16 v92, v209, v210 neg_lo:[0,1] neg_hi:[0,1]
	v_pk_fma_f16 v91, v209, 2.0, v92 op_sel_hi:[1,0,1] neg_lo:[0,0,1] neg_hi:[0,0,1]
	ds_store_b64 v95, v[91:92]
	v_pk_add_f16 v92, v212, v211 neg_lo:[0,1] neg_hi:[0,1]
	s_delay_alu instid0(VALU_DEP_1) | instskip(SKIP_2) | instid1(VALU_DEP_1)
	v_pk_fma_f16 v91, v212, 2.0, v92 op_sel_hi:[1,0,1] neg_lo:[0,0,1] neg_hi:[0,0,1]
	ds_store_b64 v99, v[91:92]
	v_pk_add_f16 v92, v213, v214 neg_lo:[0,1] neg_hi:[0,1]
	v_pk_fma_f16 v91, v213, 2.0, v92 op_sel_hi:[1,0,1] neg_lo:[0,0,1] neg_hi:[0,0,1]
	ds_store_b64 v98, v[91:92]
	v_pk_add_f16 v92, v199, v215 neg_lo:[0,1] neg_hi:[0,1]
	s_delay_alu instid0(VALU_DEP_1)
	v_pk_fma_f16 v91, v199, 2.0, v92 op_sel_hi:[1,0,1] neg_lo:[0,0,1] neg_hi:[0,0,1]
	ds_store_b64 v96, v[91:92]
	global_wb scope:SCOPE_SE
	s_wait_dscnt 0x0
	s_barrier_signal -1
	s_barrier_wait -1
	global_inv scope:SCOPE_SE
	ds_load_2addr_b32 v[91:92], v48 offset0:128 offset1:240
	s_wait_dscnt 0x0
	v_lshrrev_b32_e32 v93, 16, v92
	v_mul_f16_e64 v94, v143, v92
	s_delay_alu instid0(VALU_DEP_2) | instskip(NEXT) | instid1(VALU_DEP_2)
	v_mul_f16_e64 v95, v143, v93
	v_fma_f16 v94, v90, v93, -v94
	s_delay_alu instid0(VALU_DEP_2) | instskip(SKIP_4) | instid1(VALU_DEP_2)
	v_fmac_f16_e32 v95, v90, v92
	ds_load_2addr_b32 v[92:93], v61 offset1:112
	s_wait_dscnt 0x0
	v_lshrrev_b32_e32 v96, 16, v92
	v_sub_f16_e32 v95, v92, v95
	v_sub_f16_e32 v94, v96, v94
	s_delay_alu instid0(VALU_DEP_2) | instskip(NEXT) | instid1(VALU_DEP_2)
	v_fma_f16 v92, v92, 2.0, -v95
	v_fma_f16 v96, v96, 2.0, -v94
	v_pack_b32_f16 v205, v95, v94
	s_delay_alu instid0(VALU_DEP_2)
	v_pack_b32_f16 v92, v92, v96
	ds_load_2addr_b32 v[94:95], v47 offset0:96 offset1:208
	ds_load_2addr_b32 v[96:97], v33 offset0:96 offset1:208
	;; [unrolled: 1-line block ×6, first 2 shown]
	ds_load_2addr_b32 v[203:204], v194 offset1:112
	global_wb scope:SCOPE_SE
	s_wait_dscnt 0x0
	s_barrier_signal -1
	s_barrier_wait -1
	global_inv scope:SCOPE_SE
	ds_store_2addr_b32 v163, v92, v205 offset1:2
	v_lshrrev_b32_e32 v92, 16, v94
	v_mul_f16_e64 v163, v143, v94
	s_delay_alu instid0(VALU_DEP_1) | instskip(SKIP_1) | instid1(VALU_DEP_1)
	v_fma_f16 v163, v90, v92, -v163
	v_mul_f16_e64 v92, v143, v92
	v_fmac_f16_e32 v92, v90, v94
	v_lshrrev_b32_e32 v94, 16, v93
	s_delay_alu instid0(VALU_DEP_2) | instskip(NEXT) | instid1(VALU_DEP_2)
	v_sub_f16_e32 v92, v93, v92
	v_sub_f16_e64 v163, v94, v163
	s_delay_alu instid0(VALU_DEP_2) | instskip(NEXT) | instid1(VALU_DEP_2)
	v_fma_f16 v93, v93, 2.0, -v92
	v_fma_f16 v94, v94, 2.0, -v163
	v_pack_b32_f16 v92, v92, v163
	s_delay_alu instid0(VALU_DEP_2) | instskip(SKIP_3) | instid1(VALU_DEP_1)
	v_pack_b32_f16 v93, v93, v94
	v_mul_f16_e64 v94, v143, v95
	ds_store_2addr_b32 v162, v93, v92 offset1:2
	v_lshrrev_b32_e32 v92, 16, v95
	v_mul_f16_e64 v93, v143, v92
	v_fma_f16 v92, v90, v92, -v94
	v_lshrrev_b32_e32 v94, 16, v96
	s_delay_alu instid0(VALU_DEP_3) | instskip(NEXT) | instid1(VALU_DEP_2)
	v_fmac_f16_e32 v93, v90, v95
	v_sub_f16_e32 v92, v94, v92
	s_delay_alu instid0(VALU_DEP_2) | instskip(NEXT) | instid1(VALU_DEP_2)
	v_sub_f16_e32 v93, v96, v93
	v_fma_f16 v94, v94, 2.0, -v92
	s_delay_alu instid0(VALU_DEP_2) | instskip(SKIP_1) | instid1(VALU_DEP_1)
	v_pack_b32_f16 v92, v93, v92
	v_fma_f16 v93, v96, 2.0, -v93
	v_pack_b32_f16 v93, v93, v94
	v_lshrrev_b32_e32 v94, 16, v97
	ds_store_2addr_b32 v160, v93, v92 offset1:2
	v_lshrrev_b32_e32 v92, 16, v98
	v_mul_f16_e64 v93, v143, v98
	s_delay_alu instid0(VALU_DEP_1) | instskip(SKIP_1) | instid1(VALU_DEP_2)
	v_fma_f16 v93, v90, v92, -v93
	v_mul_f16_e64 v92, v143, v92
	v_sub_f16_e32 v93, v94, v93
	s_delay_alu instid0(VALU_DEP_2) | instskip(NEXT) | instid1(VALU_DEP_2)
	v_fmac_f16_e32 v92, v90, v98
	v_fma_f16 v94, v94, 2.0, -v93
	s_delay_alu instid0(VALU_DEP_2) | instskip(NEXT) | instid1(VALU_DEP_1)
	v_sub_f16_e32 v92, v97, v92
	v_fma_f16 v95, v97, 2.0, -v92
	v_pack_b32_f16 v92, v92, v93
	s_delay_alu instid0(VALU_DEP_2) | instskip(SKIP_3) | instid1(VALU_DEP_1)
	v_pack_b32_f16 v93, v95, v94
	v_mul_f16_e64 v94, v143, v99
	ds_store_2addr_b32 v157, v93, v92 offset1:2
	v_lshrrev_b32_e32 v92, 16, v99
	v_mul_f16_e64 v93, v143, v92
	v_fma_f16 v92, v90, v92, -v94
	v_lshrrev_b32_e32 v94, 16, v197
	s_delay_alu instid0(VALU_DEP_3) | instskip(NEXT) | instid1(VALU_DEP_2)
	v_fmac_f16_e32 v93, v90, v99
	v_sub_f16_e32 v92, v94, v92
	s_delay_alu instid0(VALU_DEP_2) | instskip(NEXT) | instid1(VALU_DEP_2)
	v_sub_f16_e64 v93, v197, v93
	v_fma_f16 v94, v94, 2.0, -v92
	s_delay_alu instid0(VALU_DEP_2) | instskip(SKIP_1) | instid1(VALU_DEP_1)
	v_pack_b32_f16 v92, v93, v92
	v_fma_f16 v93, v197, 2.0, -v93
	v_pack_b32_f16 v93, v93, v94
	v_lshrrev_b32_e32 v94, 16, v198
	ds_store_2addr_b32 v154, v93, v92 offset1:2
	v_lshrrev_b32_e32 v92, 16, v199
	v_mul_f16_e64 v93, v143, v199
	s_delay_alu instid0(VALU_DEP_1) | instskip(SKIP_1) | instid1(VALU_DEP_2)
	v_fma_f16 v93, v90, v92, -v93
	v_mul_f16_e64 v92, v143, v92
	v_sub_f16_e32 v93, v94, v93
	s_delay_alu instid0(VALU_DEP_2) | instskip(NEXT) | instid1(VALU_DEP_2)
	v_fmac_f16_e64 v92, v90, v199
	v_fma_f16 v94, v94, 2.0, -v93
	s_delay_alu instid0(VALU_DEP_2) | instskip(NEXT) | instid1(VALU_DEP_1)
	v_sub_f16_e64 v92, v198, v92
	v_fma_f16 v95, v198, 2.0, -v92
	v_pack_b32_f16 v92, v92, v93
	s_delay_alu instid0(VALU_DEP_2) | instskip(SKIP_3) | instid1(VALU_DEP_1)
	v_pack_b32_f16 v93, v95, v94
	v_mul_f16_e64 v94, v143, v200
	ds_store_2addr_b32 v146, v93, v92 offset1:2
	v_lshrrev_b32_e32 v92, 16, v200
	v_mul_f16_e64 v93, v143, v92
	v_fma_f16 v92, v90, v92, -v94
	v_lshrrev_b32_e32 v94, 16, v201
	s_delay_alu instid0(VALU_DEP_3) | instskip(NEXT) | instid1(VALU_DEP_2)
	v_fmac_f16_e64 v93, v90, v200
	v_sub_f16_e32 v92, v94, v92
	s_delay_alu instid0(VALU_DEP_2) | instskip(NEXT) | instid1(VALU_DEP_2)
	v_sub_f16_e64 v93, v201, v93
	v_fma_f16 v94, v94, 2.0, -v92
	s_delay_alu instid0(VALU_DEP_2) | instskip(SKIP_1) | instid1(VALU_DEP_1)
	v_pack_b32_f16 v92, v93, v92
	v_fma_f16 v93, v201, 2.0, -v93
	v_pack_b32_f16 v93, v93, v94
	v_lshrrev_b32_e32 v94, 16, v202
	ds_store_2addr_b32 v139, v93, v92 offset1:2
	v_lshrrev_b32_e32 v92, 16, v203
	v_mul_f16_e64 v93, v143, v203
	s_delay_alu instid0(VALU_DEP_1) | instskip(SKIP_1) | instid1(VALU_DEP_2)
	v_fma_f16 v93, v90, v92, -v93
	v_mul_f16_e64 v92, v143, v92
	v_sub_f16_e32 v93, v94, v93
	s_delay_alu instid0(VALU_DEP_2) | instskip(NEXT) | instid1(VALU_DEP_2)
	v_fmac_f16_e64 v92, v90, v203
	v_fma_f16 v94, v94, 2.0, -v93
	s_delay_alu instid0(VALU_DEP_2) | instskip(NEXT) | instid1(VALU_DEP_1)
	v_sub_f16_e64 v92, v202, v92
	v_fma_f16 v95, v202, 2.0, -v92
	v_pack_b32_f16 v92, v92, v93
	s_delay_alu instid0(VALU_DEP_2) | instskip(SKIP_3) | instid1(VALU_DEP_1)
	v_pack_b32_f16 v93, v95, v94
	v_mul_f16_e64 v94, v143, v204
	ds_store_2addr_b32 v135, v93, v92 offset1:2
	v_lshrrev_b32_e32 v92, 16, v204
	v_mul_f16_e64 v93, v143, v92
	s_delay_alu instid0(VALU_DEP_1) | instskip(SKIP_1) | instid1(VALU_DEP_2)
	v_fmac_f16_e64 v93, v90, v204
	v_fma_f16 v90, v90, v92, -v94
	v_sub_f16_e32 v92, v91, v93
	v_lshrrev_b32_e32 v93, 16, v91
	s_delay_alu instid0(VALU_DEP_2) | instskip(NEXT) | instid1(VALU_DEP_2)
	v_fma_f16 v91, v91, 2.0, -v92
	v_sub_f16_e32 v90, v93, v90
	s_delay_alu instid0(VALU_DEP_1) | instskip(SKIP_1) | instid1(VALU_DEP_2)
	v_fma_f16 v93, v93, 2.0, -v90
	v_pack_b32_f16 v90, v92, v90
	v_pack_b32_f16 v91, v91, v93
	ds_store_2addr_b32 v132, v91, v90 offset1:2
	global_wb scope:SCOPE_SE
	s_wait_dscnt 0x0
	s_barrier_signal -1
	s_barrier_wait -1
	global_inv scope:SCOPE_SE
	ds_load_2addr_b32 v[90:91], v48 offset0:128 offset1:240
	s_wait_dscnt 0x0
	v_lshrrev_b32_e32 v92, 16, v91
	v_mul_f16_e32 v93, v124, v91
	s_delay_alu instid0(VALU_DEP_2) | instskip(NEXT) | instid1(VALU_DEP_2)
	v_mul_f16_e32 v94, v124, v92
	v_fma_f16 v93, v103, v92, -v93
	s_delay_alu instid0(VALU_DEP_2) | instskip(SKIP_4) | instid1(VALU_DEP_2)
	v_fmac_f16_e32 v94, v103, v91
	ds_load_2addr_b32 v[91:92], v61 offset1:112
	s_wait_dscnt 0x0
	v_lshrrev_b32_e32 v95, 16, v91
	v_sub_f16_e32 v94, v91, v94
	v_sub_f16_e32 v93, v95, v93
	s_delay_alu instid0(VALU_DEP_2) | instskip(NEXT) | instid1(VALU_DEP_2)
	v_fma_f16 v91, v91, 2.0, -v94
	v_fma_f16 v95, v95, 2.0, -v93
	v_pack_b32_f16 v99, v94, v93
	s_delay_alu instid0(VALU_DEP_2)
	v_pack_b32_f16 v91, v91, v95
	ds_load_2addr_b32 v[93:94], v47 offset0:96 offset1:208
	ds_load_2addr_b32 v[95:96], v33 offset0:96 offset1:208
	;; [unrolled: 1-line block ×6, first 2 shown]
	ds_load_2addr_b32 v[201:202], v194 offset1:112
	global_wb scope:SCOPE_SE
	s_wait_dscnt 0x0
	s_barrier_signal -1
	s_barrier_wait -1
	global_inv scope:SCOPE_SE
	ds_store_2addr_b32 v151, v91, v99 offset1:4
	v_lshrrev_b32_e32 v91, 16, v93
	v_mul_f16_e32 v99, v124, v93
	s_delay_alu instid0(VALU_DEP_1) | instskip(SKIP_1) | instid1(VALU_DEP_1)
	v_fma_f16 v99, v103, v91, -v99
	v_mul_f16_e32 v91, v124, v91
	v_fmac_f16_e32 v91, v103, v93
	v_lshrrev_b32_e32 v93, 16, v92
	s_delay_alu instid0(VALU_DEP_2) | instskip(NEXT) | instid1(VALU_DEP_2)
	v_sub_f16_e32 v91, v92, v91
	v_sub_f16_e32 v99, v93, v99
	s_delay_alu instid0(VALU_DEP_2) | instskip(NEXT) | instid1(VALU_DEP_2)
	v_fma_f16 v92, v92, 2.0, -v91
	v_fma_f16 v93, v93, 2.0, -v99
	v_pack_b32_f16 v91, v91, v99
	s_delay_alu instid0(VALU_DEP_2) | instskip(SKIP_3) | instid1(VALU_DEP_1)
	v_pack_b32_f16 v92, v92, v93
	v_mul_f16_e32 v93, v124, v94
	ds_store_2addr_b32 v149, v92, v91 offset1:4
	v_lshrrev_b32_e32 v91, 16, v94
	v_mul_f16_e32 v92, v124, v91
	v_fma_f16 v91, v103, v91, -v93
	v_lshrrev_b32_e32 v93, 16, v95
	s_delay_alu instid0(VALU_DEP_3) | instskip(NEXT) | instid1(VALU_DEP_2)
	v_fmac_f16_e32 v92, v103, v94
	v_sub_f16_e32 v91, v93, v91
	s_delay_alu instid0(VALU_DEP_2) | instskip(NEXT) | instid1(VALU_DEP_2)
	v_sub_f16_e32 v92, v95, v92
	v_fma_f16 v93, v93, 2.0, -v91
	s_delay_alu instid0(VALU_DEP_2) | instskip(SKIP_1) | instid1(VALU_DEP_1)
	v_pack_b32_f16 v91, v92, v91
	v_fma_f16 v92, v95, 2.0, -v92
	v_pack_b32_f16 v92, v92, v93
	v_lshrrev_b32_e32 v93, 16, v96
	ds_store_2addr_b32 v141, v92, v91 offset1:4
	v_lshrrev_b32_e32 v91, 16, v97
	v_mul_f16_e32 v92, v124, v97
	s_delay_alu instid0(VALU_DEP_1) | instskip(SKIP_1) | instid1(VALU_DEP_2)
	v_fma_f16 v92, v103, v91, -v92
	v_mul_f16_e32 v91, v124, v91
	v_sub_f16_e32 v92, v93, v92
	s_delay_alu instid0(VALU_DEP_2) | instskip(NEXT) | instid1(VALU_DEP_2)
	v_fmac_f16_e32 v91, v103, v97
	v_fma_f16 v93, v93, 2.0, -v92
	s_delay_alu instid0(VALU_DEP_2) | instskip(NEXT) | instid1(VALU_DEP_1)
	v_sub_f16_e32 v91, v96, v91
	v_fma_f16 v94, v96, 2.0, -v91
	v_pack_b32_f16 v91, v91, v92
	s_delay_alu instid0(VALU_DEP_2) | instskip(SKIP_3) | instid1(VALU_DEP_1)
	v_pack_b32_f16 v92, v94, v93
	v_mul_f16_e32 v93, v124, v98
	ds_store_2addr_b32 v137, v92, v91 offset1:4
	v_lshrrev_b32_e32 v91, 16, v98
	v_mul_f16_e32 v92, v124, v91
	v_fma_f16 v91, v103, v91, -v93
	v_lshrrev_b32_e32 v93, 16, v162
	s_delay_alu instid0(VALU_DEP_3) | instskip(NEXT) | instid1(VALU_DEP_2)
	v_fmac_f16_e32 v92, v103, v98
	v_sub_f16_e32 v91, v93, v91
	s_delay_alu instid0(VALU_DEP_2) | instskip(NEXT) | instid1(VALU_DEP_2)
	v_sub_f16_e64 v92, v162, v92
	v_fma_f16 v93, v93, 2.0, -v91
	s_delay_alu instid0(VALU_DEP_2) | instskip(SKIP_1) | instid1(VALU_DEP_1)
	v_pack_b32_f16 v91, v92, v91
	v_fma_f16 v92, v162, 2.0, -v92
	v_pack_b32_f16 v92, v92, v93
	v_lshrrev_b32_e32 v93, 16, v163
	ds_store_2addr_b32 v130, v92, v91 offset1:4
	v_lshrrev_b32_e32 v91, 16, v197
	v_mul_f16_e64 v92, v124, v197
	s_delay_alu instid0(VALU_DEP_1) | instskip(SKIP_1) | instid1(VALU_DEP_2)
	v_fma_f16 v92, v103, v91, -v92
	v_mul_f16_e32 v91, v124, v91
	v_sub_f16_e32 v92, v93, v92
	s_delay_alu instid0(VALU_DEP_2) | instskip(NEXT) | instid1(VALU_DEP_2)
	v_fmac_f16_e64 v91, v103, v197
	v_fma_f16 v93, v93, 2.0, -v92
	s_delay_alu instid0(VALU_DEP_2) | instskip(NEXT) | instid1(VALU_DEP_1)
	v_sub_f16_e64 v91, v163, v91
	v_fma_f16 v94, v163, 2.0, -v91
	v_pack_b32_f16 v91, v91, v92
	s_delay_alu instid0(VALU_DEP_2) | instskip(SKIP_3) | instid1(VALU_DEP_1)
	v_pack_b32_f16 v92, v94, v93
	v_mul_f16_e64 v93, v124, v198
	ds_store_2addr_b32 v126, v92, v91 offset1:4
	v_lshrrev_b32_e32 v91, 16, v198
	v_mul_f16_e32 v92, v124, v91
	v_fma_f16 v91, v103, v91, -v93
	v_lshrrev_b32_e32 v93, 16, v199
	s_delay_alu instid0(VALU_DEP_3) | instskip(NEXT) | instid1(VALU_DEP_2)
	v_fmac_f16_e64 v92, v103, v198
	v_sub_f16_e32 v91, v93, v91
	s_delay_alu instid0(VALU_DEP_2) | instskip(NEXT) | instid1(VALU_DEP_2)
	v_sub_f16_e64 v92, v199, v92
	v_fma_f16 v93, v93, 2.0, -v91
	s_delay_alu instid0(VALU_DEP_2) | instskip(SKIP_1) | instid1(VALU_DEP_1)
	v_pack_b32_f16 v91, v92, v91
	v_fma_f16 v92, v199, 2.0, -v92
	v_pack_b32_f16 v92, v92, v93
	v_lshrrev_b32_e32 v93, 16, v200
	ds_store_2addr_b32 v121, v92, v91 offset1:4
	v_lshrrev_b32_e32 v91, 16, v201
	v_mul_f16_e64 v92, v124, v201
	s_delay_alu instid0(VALU_DEP_1) | instskip(SKIP_1) | instid1(VALU_DEP_2)
	v_fma_f16 v92, v103, v91, -v92
	v_mul_f16_e32 v91, v124, v91
	v_sub_f16_e32 v92, v93, v92
	s_delay_alu instid0(VALU_DEP_2) | instskip(NEXT) | instid1(VALU_DEP_2)
	v_fmac_f16_e64 v91, v103, v201
	v_fma_f16 v93, v93, 2.0, -v92
	s_delay_alu instid0(VALU_DEP_2) | instskip(NEXT) | instid1(VALU_DEP_1)
	v_sub_f16_e64 v91, v200, v91
	v_fma_f16 v94, v200, 2.0, -v91
	v_pack_b32_f16 v91, v91, v92
	s_delay_alu instid0(VALU_DEP_2) | instskip(SKIP_3) | instid1(VALU_DEP_1)
	v_pack_b32_f16 v92, v94, v93
	v_mul_f16_e64 v93, v124, v202
	ds_store_2addr_b32 v116, v92, v91 offset1:4
	v_lshrrev_b32_e32 v91, 16, v202
	v_mul_f16_e32 v92, v124, v91
	v_fma_f16 v91, v103, v91, -v93
	v_lshrrev_b32_e32 v93, 16, v90
	s_delay_alu instid0(VALU_DEP_3) | instskip(NEXT) | instid1(VALU_DEP_2)
	v_fmac_f16_e64 v92, v103, v202
	v_sub_f16_e32 v91, v93, v91
	s_delay_alu instid0(VALU_DEP_2) | instskip(NEXT) | instid1(VALU_DEP_2)
	v_sub_f16_e32 v92, v90, v92
	v_fma_f16 v93, v93, 2.0, -v91
	s_delay_alu instid0(VALU_DEP_2) | instskip(SKIP_1) | instid1(VALU_DEP_2)
	v_fma_f16 v90, v90, 2.0, -v92
	v_pack_b32_f16 v91, v92, v91
	v_pack_b32_f16 v90, v90, v93
	ds_store_2addr_b32 v114, v90, v91 offset1:4
	global_wb scope:SCOPE_SE
	s_wait_dscnt 0x0
	s_barrier_signal -1
	s_barrier_wait -1
	global_inv scope:SCOPE_SE
	ds_load_2addr_b32 v[90:91], v48 offset0:128 offset1:240
	s_wait_dscnt 0x0
	v_lshrrev_b32_e32 v92, 16, v91
	v_mul_f16_e32 v93, v123, v91
	s_delay_alu instid0(VALU_DEP_2) | instskip(NEXT) | instid1(VALU_DEP_2)
	v_mul_f16_e32 v94, v123, v92
	v_fma_f16 v93, v102, v92, -v93
	s_delay_alu instid0(VALU_DEP_2) | instskip(SKIP_4) | instid1(VALU_DEP_2)
	v_fmac_f16_e32 v94, v102, v91
	ds_load_2addr_b32 v[91:92], v61 offset1:112
	s_wait_dscnt 0x0
	v_lshrrev_b32_e32 v95, 16, v91
	v_sub_f16_e32 v94, v91, v94
	v_sub_f16_e32 v93, v95, v93
	s_delay_alu instid0(VALU_DEP_2) | instskip(NEXT) | instid1(VALU_DEP_2)
	v_fma_f16 v91, v91, 2.0, -v94
	v_fma_f16 v95, v95, 2.0, -v93
	v_pack_b32_f16 v99, v94, v93
	s_delay_alu instid0(VALU_DEP_2)
	v_pack_b32_f16 v91, v91, v95
	ds_load_2addr_b32 v[93:94], v47 offset0:96 offset1:208
	ds_load_2addr_b32 v[95:96], v33 offset0:96 offset1:208
	;; [unrolled: 1-line block ×6, first 2 shown]
	ds_load_2addr_b32 v[201:202], v194 offset1:112
	global_wb scope:SCOPE_SE
	s_wait_dscnt 0x0
	s_barrier_signal -1
	s_barrier_wait -1
	global_inv scope:SCOPE_SE
	ds_store_2addr_b32 v152, v91, v99 offset1:8
	v_lshrrev_b32_e32 v91, 16, v93
	v_mul_f16_e32 v99, v123, v93
	s_delay_alu instid0(VALU_DEP_1) | instskip(SKIP_1) | instid1(VALU_DEP_1)
	v_fma_f16 v99, v102, v91, -v99
	v_mul_f16_e32 v91, v123, v91
	v_fmac_f16_e32 v91, v102, v93
	v_lshrrev_b32_e32 v93, 16, v92
	s_delay_alu instid0(VALU_DEP_2) | instskip(NEXT) | instid1(VALU_DEP_2)
	v_sub_f16_e32 v91, v92, v91
	v_sub_f16_e32 v99, v93, v99
	s_delay_alu instid0(VALU_DEP_2) | instskip(NEXT) | instid1(VALU_DEP_2)
	v_fma_f16 v92, v92, 2.0, -v91
	v_fma_f16 v93, v93, 2.0, -v99
	v_pack_b32_f16 v91, v91, v99
	s_delay_alu instid0(VALU_DEP_2) | instskip(SKIP_3) | instid1(VALU_DEP_1)
	v_pack_b32_f16 v92, v92, v93
	v_mul_f16_e32 v93, v123, v94
	ds_store_2addr_b32 v150, v92, v91 offset1:8
	v_lshrrev_b32_e32 v91, 16, v94
	v_mul_f16_e32 v92, v123, v91
	v_fma_f16 v91, v102, v91, -v93
	v_lshrrev_b32_e32 v93, 16, v95
	s_delay_alu instid0(VALU_DEP_3) | instskip(NEXT) | instid1(VALU_DEP_2)
	v_fmac_f16_e32 v92, v102, v94
	v_sub_f16_e32 v91, v93, v91
	s_delay_alu instid0(VALU_DEP_2) | instskip(NEXT) | instid1(VALU_DEP_2)
	v_sub_f16_e32 v92, v95, v92
	v_fma_f16 v93, v93, 2.0, -v91
	s_delay_alu instid0(VALU_DEP_2) | instskip(SKIP_2) | instid1(VALU_DEP_3)
	v_fma_f16 v94, v95, 2.0, -v92
	v_pack_b32_f16 v91, v92, v91
	v_mul_f16_e32 v92, v123, v97
	v_pack_b32_f16 v93, v94, v93
	ds_store_2addr_b32 v142, v93, v91 offset1:8
	v_lshrrev_b32_e32 v91, 16, v97
	v_lshrrev_b32_e32 v93, 16, v96
	s_delay_alu instid0(VALU_DEP_2) | instskip(SKIP_1) | instid1(VALU_DEP_2)
	v_fma_f16 v92, v102, v91, -v92
	v_mul_f16_e32 v91, v123, v91
	v_sub_f16_e32 v92, v93, v92
	s_delay_alu instid0(VALU_DEP_2) | instskip(NEXT) | instid1(VALU_DEP_2)
	v_fmac_f16_e32 v91, v102, v97
	v_fma_f16 v93, v93, 2.0, -v92
	s_delay_alu instid0(VALU_DEP_2) | instskip(NEXT) | instid1(VALU_DEP_1)
	v_sub_f16_e32 v91, v96, v91
	v_fma_f16 v94, v96, 2.0, -v91
	v_pack_b32_f16 v91, v91, v92
	s_delay_alu instid0(VALU_DEP_2) | instskip(SKIP_3) | instid1(VALU_DEP_2)
	v_pack_b32_f16 v93, v94, v93
	ds_store_2addr_b32 v138, v93, v91 offset1:8
	v_lshrrev_b32_e32 v91, 16, v98
	v_mul_f16_e32 v93, v123, v98
	v_mul_f16_e32 v92, v123, v91
	s_delay_alu instid0(VALU_DEP_2) | instskip(SKIP_1) | instid1(VALU_DEP_3)
	v_fma_f16 v91, v102, v91, -v93
	v_lshrrev_b32_e32 v93, 16, v162
	v_fmac_f16_e32 v92, v102, v98
	s_delay_alu instid0(VALU_DEP_2) | instskip(NEXT) | instid1(VALU_DEP_2)
	v_sub_f16_e32 v91, v93, v91
	v_sub_f16_e64 v92, v162, v92
	s_delay_alu instid0(VALU_DEP_2) | instskip(NEXT) | instid1(VALU_DEP_2)
	v_fma_f16 v93, v93, 2.0, -v91
	v_fma_f16 v94, v162, 2.0, -v92
	v_pack_b32_f16 v91, v92, v91
	v_mul_f16_e64 v92, v123, v197
	s_delay_alu instid0(VALU_DEP_3) | instskip(SKIP_3) | instid1(VALU_DEP_2)
	v_pack_b32_f16 v93, v94, v93
	ds_store_2addr_b32 v128, v93, v91 offset1:8
	v_lshrrev_b32_e32 v91, 16, v197
	v_lshrrev_b32_e32 v93, 16, v163
	v_fma_f16 v92, v102, v91, -v92
	v_mul_f16_e32 v91, v123, v91
	s_delay_alu instid0(VALU_DEP_2) | instskip(NEXT) | instid1(VALU_DEP_2)
	v_sub_f16_e32 v92, v93, v92
	v_fmac_f16_e64 v91, v102, v197
	s_delay_alu instid0(VALU_DEP_2) | instskip(NEXT) | instid1(VALU_DEP_2)
	v_fma_f16 v93, v93, 2.0, -v92
	v_sub_f16_e64 v91, v163, v91
	s_delay_alu instid0(VALU_DEP_1) | instskip(SKIP_1) | instid1(VALU_DEP_2)
	v_fma_f16 v94, v163, 2.0, -v91
	v_pack_b32_f16 v91, v91, v92
	v_pack_b32_f16 v93, v94, v93
	ds_store_2addr_b32 v125, v93, v91 offset1:8
	v_lshrrev_b32_e32 v91, 16, v198
	v_mul_f16_e64 v93, v123, v198
	s_delay_alu instid0(VALU_DEP_2) | instskip(NEXT) | instid1(VALU_DEP_2)
	v_mul_f16_e32 v92, v123, v91
	v_fma_f16 v91, v102, v91, -v93
	v_lshrrev_b32_e32 v93, 16, v199
	s_delay_alu instid0(VALU_DEP_3) | instskip(NEXT) | instid1(VALU_DEP_2)
	v_fmac_f16_e64 v92, v102, v198
	v_sub_f16_e32 v91, v93, v91
	s_delay_alu instid0(VALU_DEP_2) | instskip(NEXT) | instid1(VALU_DEP_2)
	v_sub_f16_e64 v92, v199, v92
	v_fma_f16 v93, v93, 2.0, -v91
	s_delay_alu instid0(VALU_DEP_2) | instskip(SKIP_2) | instid1(VALU_DEP_3)
	v_fma_f16 v94, v199, 2.0, -v92
	v_pack_b32_f16 v91, v92, v91
	v_mul_f16_e64 v92, v123, v201
	v_pack_b32_f16 v93, v94, v93
	ds_store_2addr_b32 v119, v93, v91 offset1:8
	v_lshrrev_b32_e32 v91, 16, v201
	v_lshrrev_b32_e32 v93, 16, v200
	s_delay_alu instid0(VALU_DEP_2) | instskip(SKIP_1) | instid1(VALU_DEP_2)
	v_fma_f16 v92, v102, v91, -v92
	v_mul_f16_e32 v91, v123, v91
	v_sub_f16_e32 v92, v93, v92
	s_delay_alu instid0(VALU_DEP_2) | instskip(NEXT) | instid1(VALU_DEP_2)
	v_fmac_f16_e64 v91, v102, v201
	v_fma_f16 v93, v93, 2.0, -v92
	s_delay_alu instid0(VALU_DEP_2) | instskip(NEXT) | instid1(VALU_DEP_1)
	v_sub_f16_e64 v91, v200, v91
	v_fma_f16 v94, v200, 2.0, -v91
	v_pack_b32_f16 v91, v91, v92
	s_delay_alu instid0(VALU_DEP_2) | instskip(SKIP_3) | instid1(VALU_DEP_2)
	v_pack_b32_f16 v93, v94, v93
	ds_store_2addr_b32 v115, v93, v91 offset1:8
	v_lshrrev_b32_e32 v91, 16, v202
	v_mul_f16_e64 v93, v123, v202
	v_mul_f16_e32 v92, v123, v91
	s_delay_alu instid0(VALU_DEP_2) | instskip(SKIP_1) | instid1(VALU_DEP_3)
	v_fma_f16 v91, v102, v91, -v93
	v_lshrrev_b32_e32 v93, 16, v90
	v_fmac_f16_e64 v92, v102, v202
	s_delay_alu instid0(VALU_DEP_2) | instskip(NEXT) | instid1(VALU_DEP_2)
	v_sub_f16_e32 v91, v93, v91
	v_sub_f16_e32 v92, v90, v92
	s_delay_alu instid0(VALU_DEP_2) | instskip(NEXT) | instid1(VALU_DEP_2)
	v_fma_f16 v93, v93, 2.0, -v91
	v_fma_f16 v90, v90, 2.0, -v92
	v_pack_b32_f16 v91, v92, v91
	s_delay_alu instid0(VALU_DEP_2)
	v_pack_b32_f16 v90, v90, v93
	ds_store_2addr_b32 v113, v90, v91 offset1:8
	global_wb scope:SCOPE_SE
	s_wait_dscnt 0x0
	s_barrier_signal -1
	s_barrier_wait -1
	global_inv scope:SCOPE_SE
	ds_load_2addr_b32 v[90:91], v48 offset0:128 offset1:240
	s_wait_dscnt 0x0
	v_lshrrev_b32_e32 v92, 16, v91
	v_mul_f16_e64 v93, v129, v91
	s_delay_alu instid0(VALU_DEP_2) | instskip(NEXT) | instid1(VALU_DEP_2)
	v_mul_f16_e64 v94, v129, v92
	v_fma_f16 v93, v101, v92, -v93
	s_delay_alu instid0(VALU_DEP_2) | instskip(SKIP_4) | instid1(VALU_DEP_2)
	v_fmac_f16_e32 v94, v101, v91
	ds_load_2addr_b32 v[91:92], v61 offset1:112
	s_wait_dscnt 0x0
	v_lshrrev_b32_e32 v95, 16, v91
	v_sub_f16_e32 v94, v91, v94
	v_sub_f16_e32 v93, v95, v93
	s_delay_alu instid0(VALU_DEP_2) | instskip(NEXT) | instid1(VALU_DEP_2)
	v_fma_f16 v91, v91, 2.0, -v94
	v_fma_f16 v95, v95, 2.0, -v93
	v_pack_b32_f16 v99, v94, v93
	s_delay_alu instid0(VALU_DEP_2)
	v_pack_b32_f16 v91, v91, v95
	ds_load_2addr_b32 v[93:94], v47 offset0:96 offset1:208
	ds_load_2addr_b32 v[95:96], v33 offset0:96 offset1:208
	;; [unrolled: 1-line block ×6, first 2 shown]
	ds_load_2addr_b32 v[123:124], v194 offset1:112
	global_wb scope:SCOPE_SE
	s_wait_dscnt 0x0
	s_barrier_signal -1
	s_barrier_wait -1
	global_inv scope:SCOPE_SE
	ds_store_2addr_b32 v158, v91, v99 offset1:16
	v_lshrrev_b32_e32 v91, 16, v93
	v_mul_f16_e64 v99, v129, v93
	s_delay_alu instid0(VALU_DEP_1) | instskip(SKIP_1) | instid1(VALU_DEP_1)
	v_fma_f16 v99, v101, v91, -v99
	v_mul_f16_e64 v91, v129, v91
	v_fmac_f16_e32 v91, v101, v93
	v_lshrrev_b32_e32 v93, 16, v92
	s_delay_alu instid0(VALU_DEP_2) | instskip(NEXT) | instid1(VALU_DEP_2)
	v_sub_f16_e32 v91, v92, v91
	v_sub_f16_e32 v99, v93, v99
	s_delay_alu instid0(VALU_DEP_2) | instskip(NEXT) | instid1(VALU_DEP_2)
	v_fma_f16 v92, v92, 2.0, -v91
	v_fma_f16 v93, v93, 2.0, -v99
	v_pack_b32_f16 v91, v91, v99
	s_delay_alu instid0(VALU_DEP_2) | instskip(SKIP_3) | instid1(VALU_DEP_1)
	v_pack_b32_f16 v92, v92, v93
	v_mul_f16_e64 v93, v129, v94
	ds_store_2addr_b32 v156, v92, v91 offset1:16
	v_lshrrev_b32_e32 v91, 16, v94
	v_mul_f16_e64 v92, v129, v91
	v_fma_f16 v91, v101, v91, -v93
	v_lshrrev_b32_e32 v93, 16, v95
	s_delay_alu instid0(VALU_DEP_3) | instskip(NEXT) | instid1(VALU_DEP_2)
	v_fmac_f16_e32 v92, v101, v94
	v_sub_f16_e32 v91, v93, v91
	s_delay_alu instid0(VALU_DEP_2) | instskip(NEXT) | instid1(VALU_DEP_2)
	v_sub_f16_e32 v92, v95, v92
	v_fma_f16 v93, v93, 2.0, -v91
	s_delay_alu instid0(VALU_DEP_2) | instskip(SKIP_2) | instid1(VALU_DEP_3)
	v_fma_f16 v94, v95, 2.0, -v92
	v_pack_b32_f16 v91, v92, v91
	v_mul_f16_e64 v92, v129, v97
	v_pack_b32_f16 v93, v94, v93
	ds_store_2addr_b32 v153, v93, v91 offset1:16
	v_lshrrev_b32_e32 v91, 16, v97
	v_lshrrev_b32_e32 v93, 16, v96
	s_delay_alu instid0(VALU_DEP_2) | instskip(SKIP_1) | instid1(VALU_DEP_2)
	v_fma_f16 v92, v101, v91, -v92
	v_mul_f16_e64 v91, v129, v91
	v_sub_f16_e32 v92, v93, v92
	s_delay_alu instid0(VALU_DEP_2) | instskip(NEXT) | instid1(VALU_DEP_2)
	v_fmac_f16_e32 v91, v101, v97
	v_fma_f16 v93, v93, 2.0, -v92
	s_delay_alu instid0(VALU_DEP_2) | instskip(NEXT) | instid1(VALU_DEP_1)
	v_sub_f16_e32 v91, v96, v91
	v_fma_f16 v94, v96, 2.0, -v91
	v_pack_b32_f16 v91, v91, v92
	s_delay_alu instid0(VALU_DEP_2) | instskip(SKIP_3) | instid1(VALU_DEP_2)
	v_pack_b32_f16 v93, v94, v93
	ds_store_2addr_b32 v145, v93, v91 offset1:16
	v_lshrrev_b32_e32 v91, 16, v98
	v_mul_f16_e64 v93, v129, v98
	v_mul_f16_e64 v92, v129, v91
	s_delay_alu instid0(VALU_DEP_2) | instskip(SKIP_1) | instid1(VALU_DEP_3)
	v_fma_f16 v91, v101, v91, -v93
	v_lshrrev_b32_e32 v93, 16, v102
	v_fmac_f16_e32 v92, v101, v98
	s_delay_alu instid0(VALU_DEP_2) | instskip(NEXT) | instid1(VALU_DEP_2)
	v_sub_f16_e32 v91, v93, v91
	v_sub_f16_e32 v92, v102, v92
	s_delay_alu instid0(VALU_DEP_2) | instskip(NEXT) | instid1(VALU_DEP_2)
	v_fma_f16 v93, v93, 2.0, -v91
	v_fma_f16 v94, v102, 2.0, -v92
	v_pack_b32_f16 v91, v92, v91
	v_mul_f16_e64 v92, v129, v113
	s_delay_alu instid0(VALU_DEP_3) | instskip(SKIP_3) | instid1(VALU_DEP_2)
	v_pack_b32_f16 v93, v94, v93
	ds_store_2addr_b32 v134, v93, v91 offset1:16
	v_lshrrev_b32_e32 v91, 16, v113
	v_lshrrev_b32_e32 v93, 16, v103
	v_fma_f16 v92, v101, v91, -v92
	v_mul_f16_e64 v91, v129, v91
	s_delay_alu instid0(VALU_DEP_2) | instskip(NEXT) | instid1(VALU_DEP_2)
	v_sub_f16_e32 v92, v93, v92
	v_fmac_f16_e32 v91, v101, v113
	s_delay_alu instid0(VALU_DEP_2) | instskip(NEXT) | instid1(VALU_DEP_2)
	v_fma_f16 v93, v93, 2.0, -v92
	v_sub_f16_e32 v91, v103, v91
	s_delay_alu instid0(VALU_DEP_1) | instskip(SKIP_1) | instid1(VALU_DEP_2)
	v_fma_f16 v94, v103, 2.0, -v91
	v_pack_b32_f16 v91, v91, v92
	v_pack_b32_f16 v93, v94, v93
	ds_store_2addr_b32 v131, v93, v91 offset1:16
	v_lshrrev_b32_e32 v91, 16, v114
	v_mul_f16_e64 v93, v129, v114
	s_delay_alu instid0(VALU_DEP_2) | instskip(NEXT) | instid1(VALU_DEP_2)
	v_mul_f16_e64 v92, v129, v91
	v_fma_f16 v91, v101, v91, -v93
	v_lshrrev_b32_e32 v93, 16, v115
	s_delay_alu instid0(VALU_DEP_3) | instskip(NEXT) | instid1(VALU_DEP_2)
	v_fmac_f16_e32 v92, v101, v114
	v_sub_f16_e32 v91, v93, v91
	s_delay_alu instid0(VALU_DEP_2) | instskip(NEXT) | instid1(VALU_DEP_2)
	v_sub_f16_e32 v92, v115, v92
	v_fma_f16 v93, v93, 2.0, -v91
	s_delay_alu instid0(VALU_DEP_2) | instskip(SKIP_2) | instid1(VALU_DEP_3)
	v_fma_f16 v94, v115, 2.0, -v92
	v_pack_b32_f16 v91, v92, v91
	v_mul_f16_e64 v92, v129, v123
	v_pack_b32_f16 v93, v94, v93
	ds_store_2addr_b32 v127, v93, v91 offset1:16
	v_lshrrev_b32_e32 v91, 16, v123
	v_lshrrev_b32_e32 v93, 16, v116
	s_delay_alu instid0(VALU_DEP_2) | instskip(SKIP_1) | instid1(VALU_DEP_2)
	v_fma_f16 v92, v101, v91, -v92
	v_mul_f16_e64 v91, v129, v91
	v_sub_f16_e32 v92, v93, v92
	s_delay_alu instid0(VALU_DEP_2) | instskip(NEXT) | instid1(VALU_DEP_2)
	v_fmac_f16_e32 v91, v101, v123
	v_fma_f16 v93, v93, 2.0, -v92
	s_delay_alu instid0(VALU_DEP_2) | instskip(NEXT) | instid1(VALU_DEP_1)
	v_sub_f16_e32 v91, v116, v91
	v_fma_f16 v94, v116, 2.0, -v91
	v_pack_b32_f16 v91, v91, v92
	s_delay_alu instid0(VALU_DEP_2) | instskip(SKIP_3) | instid1(VALU_DEP_2)
	v_pack_b32_f16 v93, v94, v93
	ds_store_2addr_b32 v122, v93, v91 offset1:16
	v_lshrrev_b32_e32 v91, 16, v124
	v_mul_f16_e64 v93, v129, v124
	v_mul_f16_e64 v92, v129, v91
	s_delay_alu instid0(VALU_DEP_2) | instskip(SKIP_1) | instid1(VALU_DEP_3)
	v_fma_f16 v91, v101, v91, -v93
	v_lshrrev_b32_e32 v93, 16, v90
	v_fmac_f16_e32 v92, v101, v124
	s_delay_alu instid0(VALU_DEP_2) | instskip(NEXT) | instid1(VALU_DEP_2)
	v_sub_f16_e32 v91, v93, v91
	v_sub_f16_e32 v92, v90, v92
	s_delay_alu instid0(VALU_DEP_2) | instskip(NEXT) | instid1(VALU_DEP_2)
	v_fma_f16 v93, v93, 2.0, -v91
	v_fma_f16 v90, v90, 2.0, -v92
	v_pack_b32_f16 v91, v92, v91
	s_delay_alu instid0(VALU_DEP_2)
	v_pack_b32_f16 v90, v90, v93
	ds_store_2addr_b32 v117, v90, v91 offset1:16
	global_wb scope:SCOPE_SE
	s_wait_dscnt 0x0
	s_barrier_signal -1
	s_barrier_wait -1
	global_inv scope:SCOPE_SE
	ds_load_2addr_b32 v[90:91], v196 offset0:32 offset1:144
	s_wait_dscnt 0x0
	v_lshrrev_b32_e32 v92, 16, v91
	v_mul_f16_e64 v93, v187, v91
	s_delay_alu instid0(VALU_DEP_2) | instskip(NEXT) | instid1(VALU_DEP_2)
	v_mul_f16_e64 v94, v187, v92
	v_fma_f16 v95, v164, v92, -v93
	v_lshrrev_b32_e32 v92, 16, v90
	v_mul_f16_e64 v93, v174, v90
	s_delay_alu instid0(VALU_DEP_4) | instskip(NEXT) | instid1(VALU_DEP_3)
	v_fmac_f16_e64 v94, v164, v91
	v_mul_f16_e64 v96, v174, v92
	s_delay_alu instid0(VALU_DEP_3) | instskip(NEXT) | instid1(VALU_DEP_2)
	v_fma_f16 v122, v15, v92, -v93
	v_fmac_f16_e32 v96, v15, v90
	ds_load_2addr_b32 v[90:91], v195 offset0:64 offset1:176
	s_wait_dscnt 0x0
	v_lshrrev_b32_e32 v97, 16, v91
	v_mul_f16_e64 v98, v184, v91
	v_mul_f16_e64 v102, v171, v90
	s_delay_alu instid0(VALU_DEP_3) | instskip(NEXT) | instid1(VALU_DEP_3)
	v_mul_f16_e64 v99, v184, v97
	v_fma_f16 v97, v182, v97, -v98
	v_lshrrev_b32_e32 v98, 16, v90
	s_delay_alu instid0(VALU_DEP_3) | instskip(NEXT) | instid1(VALU_DEP_2)
	v_fmac_f16_e64 v99, v182, v91
	v_mul_f16_e64 v101, v171, v98
	v_fma_f16 v98, v16, v98, -v102
	s_delay_alu instid0(VALU_DEP_2)
	v_fmac_f16_e32 v101, v16, v90
	ds_load_2addr_b32 v[90:91], v48 offset0:128 offset1:240
	s_wait_dscnt 0x0
	v_lshrrev_b32_e32 v103, 16, v91
	v_mul_f16_e64 v113, v155, v91
	v_mul_f16_e64 v116, v174, v90
	s_delay_alu instid0(VALU_DEP_3) | instskip(NEXT) | instid1(VALU_DEP_3)
	v_mul_f16_e64 v114, v155, v103
	v_fma_f16 v103, v147, v103, -v113
	v_lshrrev_b32_e32 v113, 16, v90
	s_delay_alu instid0(VALU_DEP_3) | instskip(NEXT) | instid1(VALU_DEP_2)
	v_fmac_f16_e64 v114, v147, v91
	v_mul_f16_e64 v115, v174, v113
	v_fma_f16 v102, v15, v113, -v116
	s_delay_alu instid0(VALU_DEP_2) | instskip(SKIP_4) | instid1(VALU_DEP_2)
	v_fmac_f16_e32 v115, v15, v90
	ds_load_2addr_b32 v[90:91], v49 offset0:32 offset1:144
	s_wait_dscnt 0x0
	v_lshrrev_b32_e32 v117, 16, v91
	v_mul_f16_e64 v119, v144, v91
	v_mul_f16_e64 v121, v144, v117
	s_delay_alu instid0(VALU_DEP_2) | instskip(NEXT) | instid1(VALU_DEP_2)
	v_fma_f16 v117, v140, v117, -v119
	v_fmac_f16_e64 v121, v140, v91
	v_lshrrev_b32_e32 v91, 16, v90
	s_delay_alu instid0(VALU_DEP_1) | instskip(NEXT) | instid1(VALU_DEP_1)
	v_mul_f16_e64 v119, v171, v91
	v_fmac_f16_e32 v119, v16, v90
	v_mul_f16_e64 v90, v171, v90
	s_delay_alu instid0(VALU_DEP_1) | instskip(SKIP_4) | instid1(VALU_DEP_2)
	v_fma_f16 v113, v16, v91, -v90
	ds_load_2addr_b32 v[90:91], v47 offset0:96 offset1:208
	s_wait_dscnt 0x0
	v_lshrrev_b32_e32 v92, 16, v90
	v_mul_f16_e64 v93, v174, v90
	v_mul_f16_e64 v116, v174, v92
	s_delay_alu instid0(VALU_DEP_2)
	v_fma_f16 v123, v15, v92, -v93
	ds_load_2addr_b32 v[92:93], v194 offset1:112
	v_fmac_f16_e32 v116, v15, v90
	v_lshrrev_b32_e32 v15, 16, v91
	v_add_f16_e32 v90, v122, v98
	s_wait_dscnt 0x0
	v_lshrrev_b32_e32 v124, 16, v92
	v_mul_f16_e64 v125, v171, v92
	s_delay_alu instid0(VALU_DEP_2) | instskip(NEXT) | instid1(VALU_DEP_2)
	v_mul_f16_e64 v126, v171, v124
	v_fma_f16 v124, v16, v124, -v125
	v_mul_f16_e32 v125, v112, v15
	s_delay_alu instid0(VALU_DEP_3) | instskip(SKIP_1) | instid1(VALU_DEP_3)
	v_fmac_f16_e32 v126, v16, v92
	v_mul_f16_e32 v16, v112, v91
	v_fmac_f16_e32 v125, v109, v91
	v_add_f16_e32 v92, v96, v101
	s_delay_alu instid0(VALU_DEP_3) | instskip(SKIP_2) | instid1(VALU_DEP_2)
	v_fma_f16 v109, v109, v15, -v16
	v_lshrrev_b32_e32 v15, 16, v93
	v_mul_f16_e32 v16, v108, v93
	v_mul_f16_e32 v112, v108, v15
	s_delay_alu instid0(VALU_DEP_1) | instskip(NEXT) | instid1(VALU_DEP_3)
	v_fmac_f16_e32 v112, v104, v93
	v_fma_f16 v104, v104, v15, -v16
	ds_load_2addr_b32 v[15:16], v61 offset1:112
	s_wait_dscnt 0x0
	v_lshrrev_b32_e32 v108, 16, v15
	s_delay_alu instid0(VALU_DEP_1) | instskip(SKIP_2) | instid1(VALU_DEP_3)
	v_add_f16_e32 v91, v108, v122
	v_fmac_f16_e32 v108, -0.5, v90
	v_sub_f16_e32 v122, v122, v98
	v_add_f16_e32 v90, v91, v98
	v_add_f16_e32 v91, v15, v96
	v_sub_f16_e32 v96, v96, v101
	v_fma_f16 v15, -0.5, v92, v15
	s_delay_alu instid0(VALU_DEP_3) | instskip(NEXT) | instid1(VALU_DEP_1)
	v_add_f16_e32 v91, v91, v101
	v_pack_b32_f16 v98, v91, v90
	s_delay_alu instid0(VALU_DEP_3) | instskip(SKIP_4) | instid1(VALU_DEP_4)
	v_fmamk_f16 v90, v122, 0xbaee, v15
	v_fmamk_f16 v91, v96, 0x3aee, v108
	v_fmac_f16_e32 v15, 0x3aee, v122
	v_fmac_f16_e32 v108, 0xbaee, v96
	v_lshrrev_b32_e32 v96, 16, v16
	v_pack_b32_f16 v101, v90, v91
	ds_load_2addr_b32 v[90:91], v33 offset0:96 offset1:208
	ds_load_2addr_b32 v[92:93], v34 offset0:64 offset1:176
	v_pack_b32_f16 v15, v15, v108
	global_wb scope:SCOPE_SE
	s_wait_dscnt 0x0
	s_barrier_signal -1
	s_barrier_wait -1
	global_inv scope:SCOPE_SE
	ds_store_b32 v161, v15 offset:256
	v_add_f16_e32 v15, v94, v99
	ds_store_2addr_b32 v161, v98, v101 offset1:32
	v_add_f16_e32 v98, v16, v94
	v_add_f16_e32 v101, v96, v95
	v_fmac_f16_e32 v16, -0.5, v15
	v_add_f16_e32 v15, v95, v97
	s_delay_alu instid0(VALU_DEP_1) | instskip(SKIP_1) | instid1(VALU_DEP_1)
	v_fmac_f16_e32 v96, -0.5, v15
	v_sub_f16_e32 v15, v95, v97
	v_fmamk_f16 v95, v15, 0xbaee, v16
	v_fmac_f16_e32 v16, 0x3aee, v15
	v_sub_f16_e32 v15, v94, v99
	s_delay_alu instid0(VALU_DEP_1) | instskip(SKIP_1) | instid1(VALU_DEP_2)
	v_fmamk_f16 v94, v15, 0x3aee, v96
	v_fmac_f16_e32 v96, 0xbaee, v15
	v_pack_b32_f16 v94, v95, v94
	s_delay_alu instid0(VALU_DEP_2)
	v_pack_b32_f16 v15, v16, v96
	v_add_f16_e32 v16, v98, v99
	v_add_f16_e32 v96, v101, v97
	;; [unrolled: 1-line block ×3, first 2 shown]
	v_sub_f16_e32 v97, v115, v119
	v_sub_f16_e32 v98, v116, v126
	s_delay_alu instid0(VALU_DEP_4)
	v_pack_b32_f16 v16, v16, v96
	ds_store_2addr_b32 v159, v16, v94 offset1:32
	ds_store_b32 v159, v15 offset:256
	v_lshrrev_b32_e32 v15, 16, v90
	v_add_f16_e32 v16, v102, v113
	v_add_f16_e32 v96, v115, v119
	;; [unrolled: 1-line block ×3, first 2 shown]
	s_delay_alu instid0(VALU_DEP_4) | instskip(NEXT) | instid1(VALU_DEP_4)
	v_add_f16_e32 v94, v15, v102
	v_fmac_f16_e32 v15, -0.5, v16
	v_sub_f16_e32 v16, v102, v113
	v_fma_f16 v90, -0.5, v96, v90
	s_delay_alu instid0(VALU_DEP_4) | instskip(NEXT) | instid1(VALU_DEP_4)
	v_add_f16_e32 v94, v94, v113
	v_fmamk_f16 v96, v97, 0x3aee, v15
	v_fmac_f16_e32 v15, 0xbaee, v97
	s_delay_alu instid0(VALU_DEP_3) | instskip(SKIP_3) | instid1(VALU_DEP_3)
	v_pack_b32_f16 v94, v95, v94
	v_fmamk_f16 v95, v16, 0xbaee, v90
	v_fmac_f16_e32 v90, 0x3aee, v16
	v_lshrrev_b32_e32 v16, 16, v91
	v_pack_b32_f16 v95, v95, v96
	s_delay_alu instid0(VALU_DEP_3)
	v_pack_b32_f16 v15, v90, v15
	v_add_f16_e32 v90, v91, v114
	ds_store_2addr_b32 v148, v94, v95 offset1:32
	ds_store_b32 v148, v15 offset:256
	v_add_f16_e32 v15, v114, v121
	v_add_f16_e32 v94, v16, v103
	s_delay_alu instid0(VALU_DEP_2) | instskip(SKIP_1) | instid1(VALU_DEP_1)
	v_fmac_f16_e32 v91, -0.5, v15
	v_add_f16_e32 v15, v103, v117
	v_fmac_f16_e32 v16, -0.5, v15
	v_sub_f16_e32 v15, v103, v117
	s_delay_alu instid0(VALU_DEP_1) | instskip(SKIP_2) | instid1(VALU_DEP_1)
	v_fmamk_f16 v95, v15, 0xbaee, v91
	v_fmac_f16_e32 v91, 0x3aee, v15
	v_sub_f16_e32 v15, v114, v121
	v_fmamk_f16 v96, v15, 0x3aee, v16
	v_fmac_f16_e32 v16, 0xbaee, v15
	s_delay_alu instid0(VALU_DEP_1) | instskip(SKIP_2) | instid1(VALU_DEP_1)
	v_pack_b32_f16 v15, v91, v16
	v_add_f16_e32 v16, v90, v121
	v_add_f16_e32 v90, v94, v117
	v_pack_b32_f16 v16, v16, v90
	v_pack_b32_f16 v90, v95, v96
	ds_store_2addr_b32 v133, v16, v90 offset1:32
	ds_store_b32 v133, v15 offset:256
	v_add_f16_e32 v15, v125, v112
	v_lshrrev_b32_e32 v16, 16, v93
	v_add_f16_e32 v90, v93, v125
	v_add_f16_e32 v96, v123, v124
	s_delay_alu instid0(VALU_DEP_4) | instskip(SKIP_2) | instid1(VALU_DEP_2)
	v_fmac_f16_e32 v93, -0.5, v15
	v_add_f16_e32 v15, v109, v104
	v_add_f16_e32 v91, v16, v109
	v_fmac_f16_e32 v16, -0.5, v15
	v_sub_f16_e32 v15, v109, v104
	s_delay_alu instid0(VALU_DEP_1) | instskip(SKIP_2) | instid1(VALU_DEP_1)
	v_fmamk_f16 v94, v15, 0xbaee, v93
	v_fmac_f16_e32 v93, 0x3aee, v15
	v_sub_f16_e32 v15, v125, v112
	v_fmamk_f16 v95, v15, 0x3aee, v16
	v_fmac_f16_e32 v16, 0xbaee, v15
	v_add_f16_e32 v15, v116, v126
	s_delay_alu instid0(VALU_DEP_2) | instskip(SKIP_1) | instid1(VALU_DEP_3)
	v_pack_b32_f16 v16, v93, v16
	v_lshrrev_b32_e32 v93, 16, v92
	v_fma_f16 v15, -0.5, v15, v92
	v_add_f16_e32 v92, v92, v116
	s_delay_alu instid0(VALU_DEP_3) | instskip(SKIP_2) | instid1(VALU_DEP_4)
	v_add_f16_e32 v97, v93, v123
	v_fmac_f16_e32 v93, -0.5, v96
	v_sub_f16_e32 v96, v123, v124
	v_add_f16_e32 v92, v92, v126
	s_delay_alu instid0(VALU_DEP_4) | instskip(NEXT) | instid1(VALU_DEP_4)
	v_add_f16_e32 v97, v97, v124
	v_fmamk_f16 v99, v98, 0x3aee, v93
	v_fmac_f16_e32 v93, 0xbaee, v98
	s_delay_alu instid0(VALU_DEP_3) | instskip(SKIP_2) | instid1(VALU_DEP_2)
	v_pack_b32_f16 v92, v92, v97
	v_fmamk_f16 v97, v96, 0xbaee, v15
	v_fmac_f16_e32 v15, 0x3aee, v96
	v_pack_b32_f16 v97, v97, v99
	s_delay_alu instid0(VALU_DEP_2) | instskip(SKIP_4) | instid1(VALU_DEP_1)
	v_pack_b32_f16 v15, v15, v93
	ds_store_2addr_b32 v120, v92, v97 offset1:32
	ds_store_b32 v120, v15 offset:256
	v_add_f16_e32 v15, v90, v112
	v_add_f16_e32 v90, v91, v104
	v_pack_b32_f16 v15, v15, v90
	v_pack_b32_f16 v90, v94, v95
	ds_store_2addr_b32 v118, v15, v90 offset1:32
	ds_store_b32 v118, v16 offset:256
	global_wb scope:SCOPE_SE
	s_wait_dscnt 0x0
	s_barrier_signal -1
	s_barrier_wait -1
	global_inv scope:SCOPE_SE
	ds_load_2addr_b32 v[15:16], v196 offset0:32 offset1:144
	ds_load_2addr_b32 v[90:91], v195 offset0:64 offset1:176
	s_wait_dscnt 0x1
	v_lshrrev_b32_e32 v92, 16, v15
	v_mul_f16_e64 v93, v178, v15
	s_wait_dscnt 0x0
	v_mul_f16_e64 v95, v177, v90
	v_mul_f16_e64 v98, v175, v91
	;; [unrolled: 1-line block ×3, first 2 shown]
	v_fma_f16 v92, v31, v92, -v93
	v_lshrrev_b32_e32 v93, 16, v90
	s_delay_alu instid0(VALU_DEP_3) | instskip(SKIP_1) | instid1(VALU_DEP_3)
	v_fmac_f16_e32 v94, v31, v15
	v_lshrrev_b32_e32 v31, 16, v16
	v_mul_f16_e64 v96, v177, v93
	v_fma_f16 v93, v32, v93, -v95
	v_lshrrev_b32_e32 v95, 16, v91
	s_delay_alu instid0(VALU_DEP_3) | instskip(SKIP_2) | instid1(VALU_DEP_4)
	v_fmac_f16_e32 v96, v32, v90
	v_mul_f16_e64 v90, v176, v31
	v_mul_f16_e64 v32, v176, v16
	;; [unrolled: 1-line block ×3, first 2 shown]
	v_add_f16_e32 v112, v92, v93
	s_delay_alu instid0(VALU_DEP_4)
	v_fmac_f16_e32 v90, v29, v16
	ds_load_2addr_b32 v[15:16], v48 offset0:128 offset1:240
	v_fma_f16 v29, v29, v31, -v32
	ds_load_2addr_b32 v[31:32], v49 offset0:32 offset1:144
	v_fmac_f16_e32 v97, v30, v91
	v_fma_f16 v30, v30, v95, -v98
	s_wait_dscnt 0x1
	v_lshrrev_b32_e32 v49, 16, v15
	v_mul_f16_e64 v91, v173, v15
	s_wait_dscnt 0x0
	v_mul_f16_e64 v98, v172, v31
	v_mul_f16_e64 v102, v170, v16
	v_lshrrev_b32_e32 v101, 16, v32
	v_mul_f16_e64 v95, v173, v49
	v_fma_f16 v49, v23, v49, -v91
	v_lshrrev_b32_e32 v91, 16, v31
	v_mul_f16_e64 v104, v169, v32
	v_mul_f16_e64 v103, v169, v101
	v_fmac_f16_e32 v95, v23, v15
	s_delay_alu instid0(VALU_DEP_4)
	v_mul_f16_e64 v99, v172, v91
	v_fma_f16 v91, v24, v91, -v98
	v_lshrrev_b32_e32 v98, 16, v16
	v_fmac_f16_e32 v103, v22, v32
	v_fma_f16 v22, v22, v101, -v104
	v_fmac_f16_e32 v99, v24, v31
	s_delay_alu instid0(VALU_DEP_4) | instskip(NEXT) | instid1(VALU_DEP_1)
	v_mul_f16_e64 v31, v170, v98
	v_fmac_f16_e32 v31, v21, v16
	ds_load_2addr_b32 v[15:16], v47 offset0:96 offset1:208
	ds_load_2addr_b32 v[23:24], v194 offset1:112
	v_fma_f16 v21, v21, v98, -v102
	s_wait_dscnt 0x1
	v_lshrrev_b32_e32 v32, 16, v15
	s_wait_dscnt 0x0
	v_lshrrev_b32_e32 v98, 16, v23
	v_mul_f16_e64 v101, v167, v15
	v_mul_f16_e64 v102, v168, v23
	;; [unrolled: 1-line block ×5, first 2 shown]
	v_fma_f16 v32, v19, v32, -v101
	v_fma_f16 v98, v20, v98, -v102
	v_mul_f16_e64 v101, v166, v16
	v_fmac_f16_e32 v104, v19, v15
	v_lshrrev_b32_e32 v15, 16, v16
	v_fmac_f16_e32 v108, v20, v23
	ds_load_2addr_b32 v[19:20], v61 offset1:112
	v_mul_f16_e64 v23, v166, v15
	v_fma_f16 v101, v17, v15, -v101
	v_add_f16_e32 v15, v94, v96
	s_delay_alu instid0(VALU_DEP_3) | instskip(SKIP_1) | instid1(VALU_DEP_1)
	v_fmac_f16_e32 v23, v17, v16
	v_lshrrev_b32_e32 v16, 16, v24
	v_mul_f16_e64 v102, v165, v16
	v_fma_f16 v109, v18, v16, -v109
	s_delay_alu instid0(VALU_DEP_2)
	v_fmac_f16_e32 v102, v18, v24
	s_wait_dscnt 0x0
	v_lshrrev_b32_e32 v24, 16, v19
	v_add_f16_e32 v17, v19, v94
	v_fma_f16 v19, -0.5, v15, v19
	v_sub_f16_e32 v94, v94, v96
	s_delay_alu instid0(VALU_DEP_4) | instskip(SKIP_2) | instid1(VALU_DEP_3)
	v_add_f16_e32 v16, v24, v92
	v_fmac_f16_e32 v24, -0.5, v112
	v_sub_f16_e32 v92, v92, v93
	v_add_f16_e32 v15, v16, v93
	v_add_f16_e32 v16, v17, v96
	s_delay_alu instid0(VALU_DEP_3)
	v_fmamk_f16 v17, v92, 0xbaee, v19
	v_fmamk_f16 v18, v94, 0x3aee, v24
	v_fmac_f16_e32 v19, 0x3aee, v92
	v_add_f16_e32 v92, v29, v30
	v_pack_b32_f16 v93, v16, v15
	v_fmac_f16_e32 v24, 0xbaee, v94
	v_pack_b32_f16 v96, v17, v18
	ds_load_2addr_b32 v[17:18], v33 offset0:96 offset1:208
	ds_load_2addr_b32 v[15:16], v34 offset0:64 offset1:176
	v_add_f16_e32 v33, v90, v97
	v_lshrrev_b32_e32 v34, 16, v20
	v_add_f16_e32 v94, v20, v90
	v_sub_f16_e32 v90, v90, v97
	v_pack_b32_f16 v19, v19, v24
	v_fmac_f16_e32 v20, -0.5, v33
	v_add_f16_e32 v33, v34, v29
	v_sub_f16_e32 v29, v29, v30
	v_fmac_f16_e32 v34, -0.5, v92
	global_wb scope:SCOPE_SE
	s_wait_dscnt 0x0
	s_barrier_signal -1
	s_barrier_wait -1
	v_fmamk_f16 v24, v29, 0xbaee, v20
	v_fmac_f16_e32 v20, 0x3aee, v29
	v_fmamk_f16 v29, v90, 0x3aee, v34
	v_fmac_f16_e32 v34, 0xbaee, v90
	global_inv scope:SCOPE_SE
	ds_store_2addr_b32 v136, v93, v96 offset1:96
	ds_store_b32 v136, v19 offset:768
	v_add_f16_e32 v90, v49, v91
	v_add_f16_e32 v30, v33, v30
	v_pack_b32_f16 v19, v20, v34
	v_lshrrev_b32_e32 v20, 16, v17
	v_add_f16_e32 v34, v95, v99
	v_add_f16_e32 v33, v17, v95
	;; [unrolled: 1-line block ×4, first 2 shown]
	v_sub_f16_e32 v93, v101, v109
	v_fma_f16 v17, -0.5, v34, v17
	v_sub_f16_e32 v34, v49, v91
	v_add_f16_e32 v49, v20, v49
	v_fmac_f16_e32 v20, -0.5, v90
	v_sub_f16_e32 v90, v95, v99
	v_add_f16_e32 v33, v33, v99
	v_fmamk_f16 v95, v34, 0xbaee, v17
	v_fmac_f16_e32 v17, 0x3aee, v34
	v_add_f16_e32 v34, v49, v91
	v_fmamk_f16 v97, v90, 0x3aee, v20
	v_add_f16_e32 v49, v31, v103
	v_fmac_f16_e32 v20, 0xbaee, v90
	v_lshrrev_b32_e32 v99, 16, v18
	v_add_f16_e32 v90, v21, v22
	v_add_f16_e32 v91, v18, v31
	v_fmac_f16_e32 v18, -0.5, v49
	v_sub_f16_e32 v49, v21, v22
	v_add_f16_e32 v21, v99, v21
	v_fmac_f16_e32 v99, -0.5, v90
	v_sub_f16_e32 v31, v31, v103
	v_add_f16_e32 v90, v104, v108
	v_fmamk_f16 v112, v49, 0xbaee, v18
	v_fmac_f16_e32 v18, 0x3aee, v49
	v_add_f16_e32 v21, v21, v22
	v_fmamk_f16 v22, v31, 0x3aee, v99
	v_fmac_f16_e32 v99, 0xbaee, v31
	v_lshrrev_b32_e32 v49, 16, v15
	v_add_f16_e32 v31, v32, v98
	v_add_f16_e32 v103, v91, v103
	;; [unrolled: 1-line block ×3, first 2 shown]
	v_fma_f16 v15, -0.5, v90, v15
	v_sub_f16_e32 v90, v32, v98
	v_add_f16_e32 v32, v49, v32
	v_fmac_f16_e32 v49, -0.5, v31
	v_sub_f16_e32 v31, v104, v108
	v_add_f16_e32 v104, v91, v108
	v_fmamk_f16 v108, v90, 0xbaee, v15
	v_fmac_f16_e32 v15, 0x3aee, v90
	v_add_f16_e32 v32, v32, v98
	v_fmamk_f16 v98, v31, 0x3aee, v49
	v_add_f16_e32 v91, v23, v102
	v_fmac_f16_e32 v49, 0xbaee, v31
	v_lshrrev_b32_e32 v90, 16, v16
	v_add_f16_e32 v31, v101, v109
	v_sub_f16_e32 v23, v23, v102
	v_fmac_f16_e32 v16, -0.5, v91
	v_pack_b32_f16 v24, v24, v29
	v_add_f16_e32 v94, v90, v101
	v_fmac_f16_e32 v90, -0.5, v31
	v_pack_b32_f16 v29, v33, v34
	v_fmamk_f16 v91, v93, 0xbaee, v16
	v_fmac_f16_e32 v16, 0x3aee, v93
	v_add_f16_e32 v92, v92, v102
	v_fmamk_f16 v93, v23, 0x3aee, v90
	v_fmac_f16_e32 v90, 0xbaee, v23
	v_pack_b32_f16 v23, v96, v30
	v_pack_b32_f16 v30, v95, v97
	v_add_f16_e32 v94, v94, v109
	v_pack_b32_f16 v17, v17, v20
	v_pack_b32_f16 v20, v103, v21
	;; [unrolled: 1-line block ×3, first 2 shown]
	ds_store_2addr_b32 v110, v23, v24 offset1:96
	ds_store_b32 v110, v19 offset:768
	ds_store_2addr_b32 v111, v29, v30 offset1:96
	ds_store_b32 v111, v17 offset:768
	ds_store_2addr_b32 v105, v20, v21 offset1:96
	v_pack_b32_f16 v17, v18, v99
	v_pack_b32_f16 v18, v104, v32
	;; [unrolled: 1-line block ×7, first 2 shown]
	ds_store_b32 v105, v17 offset:768
	ds_store_2addr_b32 v106, v18, v19 offset1:96
	ds_store_b32 v106, v20 offset:768
	ds_store_2addr_b32 v107, v21, v22 offset1:96
	ds_store_b32 v107, v23 offset:768
	v_add_nc_u32_e32 v19, 0x400, v61
	v_add_nc_u32_e32 v20, 0x800, v61
	global_wb scope:SCOPE_SE
	s_wait_dscnt 0x0
	s_barrier_signal -1
	s_barrier_wait -1
	global_inv scope:SCOPE_SE
	ds_load_2addr_b32 v[17:18], v61 offset1:112
	ds_load_2addr_b32 v[33:34], v19 offset0:32 offset1:144
	v_add_nc_u32_e32 v19, 0x1600, v61
	v_add_nc_u32_e32 v95, 0x1a00, v61
	ds_load_2addr_b32 v[31:32], v20 offset0:64 offset1:176
	ds_load_2addr_b32 v[29:30], v48 offset0:96 offset1:208
	ds_load_2addr_b32 v[23:24], v47 offset0:128 offset1:240
	ds_load_2addr_b32 v[21:22], v19 offset0:32 offset1:144
	ds_load_2addr_b32 v[19:20], v95 offset0:64 offset1:176
	s_and_saveexec_b32 s0, vcc_lo
	s_cbranch_execz .LBB0_7
; %bb.6:
	ds_load_b32 v15, v61 offset:896
	ds_load_b32 v92, v61 offset:2048
	ds_load_b32 v91, v61 offset:3200
	ds_load_b32 v16, v61 offset:4352
	ds_load_b32 v35, v61 offset:5504
	ds_load_b32 v36, v61 offset:6656
	ds_load_b32 v45, v61 offset:7808
	s_wait_dscnt 0x6
	v_lshrrev_b32_e32 v49, 16, v15
	s_wait_dscnt 0x5
	v_lshrrev_b32_e32 v94, 16, v92
	;; [unrolled: 2-line block ×7, first 2 shown]
.LBB0_7:
	s_wait_alu 0xfffe
	s_or_b32 exec_lo, exec_lo, s0
	s_wait_dscnt 0x5
	v_lshrrev_b32_e32 v48, 16, v33
	s_wait_dscnt 0x4
	v_lshrrev_b32_e32 v95, 16, v31
	;; [unrolled: 2-line block ×5, first 2 shown]
	v_mul_f16_e64 v107, v193, v48
	v_mul_f16_e64 v108, v193, v33
	;; [unrolled: 1-line block ×4, first 2 shown]
	s_wait_dscnt 0x0
	v_lshrrev_b32_e32 v99, 16, v19
	v_lshrrev_b32_e32 v102, 16, v34
	v_fmac_f16_e32 v107, v8, v33
	v_fma_f16 v8, v8, v48, -v108
	v_fmac_f16_e32 v109, v9, v31
	v_fma_f16 v9, v9, v95, -v110
	v_mul_f16_e64 v31, v191, v96
	v_mul_f16_e64 v33, v191, v29
	;; [unrolled: 1-line block ×5, first 2 shown]
	v_lshrrev_b32_e32 v103, 16, v32
	v_lshrrev_b32_e32 v104, 16, v30
	;; [unrolled: 1-line block ×3, first 2 shown]
	v_fmac_f16_e32 v31, v10, v29
	v_fma_f16 v10, v10, v96, -v33
	v_fmac_f16_e32 v48, v11, v23
	v_fma_f16 v11, v11, v97, -v95
	v_fmac_f16_e32 v108, v25, v21
	v_mul_f16_e64 v21, v189, v21
	v_mul_f16_e64 v23, v188, v99
	;; [unrolled: 1-line block ×5, first 2 shown]
	v_lshrrev_b32_e32 v106, 16, v22
	v_lshrrev_b32_e32 v111, 16, v20
	v_fma_f16 v21, v25, v98, -v21
	v_fmac_f16_e32 v23, v26, v19
	v_fma_f16 v19, v26, v99, -v29
	v_fmac_f16_e32 v33, v4, v34
	v_fma_f16 v4, v4, v102, -v95
	v_mul_f16_e64 v25, v185, v103
	v_mul_f16_e64 v26, v185, v32
	;; [unrolled: 1-line block ×5, first 2 shown]
	v_fmac_f16_e32 v25, v5, v32
	v_fma_f16 v5, v5, v103, -v26
	v_fmac_f16_e32 v29, v6, v30
	v_fma_f16 v6, v6, v104, -v34
	v_fmac_f16_e32 v95, v7, v24
	v_mul_f16_e64 v24, v181, v24
	v_mul_f16_e64 v26, v180, v106
	;; [unrolled: 1-line block ×5, first 2 shown]
	v_fma_f16 v7, v7, v105, -v24
	v_fmac_f16_e32 v26, v27, v22
	v_fma_f16 v22, v27, v106, -v30
	v_fmac_f16_e32 v32, v28, v20
	v_fma_f16 v20, v28, v111, -v34
	v_add_f16_e32 v24, v107, v23
	v_add_f16_e32 v27, v8, v19
	v_sub_f16_e32 v8, v8, v19
	v_add_f16_e32 v19, v109, v108
	v_add_f16_e32 v28, v9, v21
	v_sub_f16_e32 v23, v107, v23
	v_sub_f16_e32 v30, v109, v108
	;; [unrolled: 1-line block ×3, first 2 shown]
	v_add_f16_e32 v21, v31, v48
	v_add_f16_e32 v34, v10, v11
	v_sub_f16_e32 v31, v48, v31
	v_sub_f16_e32 v10, v11, v10
	v_add_f16_e32 v11, v19, v24
	v_add_f16_e32 v48, v28, v27
	v_lshrrev_b32_e32 v47, 16, v17
	v_sub_f16_e32 v96, v19, v24
	v_sub_f16_e32 v97, v28, v27
	;; [unrolled: 1-line block ×6, first 2 shown]
	v_add_f16_e32 v98, v31, v30
	v_add_f16_e32 v99, v10, v9
	v_sub_f16_e32 v102, v31, v30
	v_sub_f16_e32 v103, v10, v9
	;; [unrolled: 1-line block ×3, first 2 shown]
	v_add_f16_e32 v11, v21, v11
	v_add_f16_e32 v21, v34, v48
	v_sub_f16_e32 v9, v9, v8
	v_sub_f16_e32 v31, v23, v31
	;; [unrolled: 1-line block ×3, first 2 shown]
	v_add_f16_e32 v23, v98, v23
	v_add_f16_e32 v8, v99, v8
	;; [unrolled: 1-line block ×4, first 2 shown]
	v_mul_f16_e32 v24, 0x3a52, v24
	v_mul_f16_e32 v27, 0x3a52, v27
	;; [unrolled: 1-line block ×8, first 2 shown]
	v_fmamk_f16 v11, v11, 0xbcab, v17
	v_fmamk_f16 v21, v21, 0xbcab, v34
	;; [unrolled: 1-line block ×4, first 2 shown]
	v_fma_f16 v47, v96, 0x39e0, -v47
	v_fma_f16 v48, v97, 0x39e0, -v48
	;; [unrolled: 1-line block ×4, first 2 shown]
	v_fmamk_f16 v96, v31, 0xb574, v98
	v_fmamk_f16 v97, v10, 0xb574, v99
	v_fma_f16 v31, v31, 0x3574, -v102
	v_fma_f16 v10, v10, 0x3574, -v103
	;; [unrolled: 1-line block ×4, first 2 shown]
	v_add_f16_e32 v19, v19, v11
	v_add_f16_e32 v28, v28, v21
	;; [unrolled: 1-line block ×6, first 2 shown]
	v_fmac_f16_e32 v96, 0xb70e, v23
	v_fmac_f16_e32 v10, 0xb70e, v8
	;; [unrolled: 1-line block ×5, first 2 shown]
	v_sub_f16_e32 v23, v28, v96
	v_add_f16_e32 v24, v10, v11
	v_sub_f16_e32 v27, v21, v31
	v_sub_f16_e32 v10, v11, v10
	v_add_f16_e32 v11, v31, v21
	v_add_f16_e32 v21, v96, v28
	;; [unrolled: 1-line block ×4, first 2 shown]
	v_sub_f16_e32 v32, v33, v32
	v_sub_f16_e32 v4, v4, v20
	v_add_f16_e32 v20, v25, v26
	v_add_f16_e32 v33, v5, v22
	v_fmac_f16_e32 v97, 0xb70e, v8
	v_sub_f16_e32 v98, v47, v9
	v_add_f16_e32 v9, v9, v47
	v_sub_f16_e32 v25, v25, v26
	v_sub_f16_e32 v5, v5, v22
	v_add_f16_e32 v22, v29, v95
	v_add_f16_e32 v26, v6, v7
	v_sub_f16_e32 v29, v95, v29
	v_sub_f16_e32 v6, v7, v6
	v_add_f16_e32 v7, v20, v28
	v_add_f16_e32 v47, v33, v31
	v_lshrrev_b32_e32 v101, 16, v18
	v_add_f16_e32 v8, v97, v19
	v_add_f16_e32 v99, v30, v48
	v_sub_f16_e32 v30, v48, v30
	v_sub_f16_e32 v19, v19, v97
	;; [unrolled: 1-line block ×8, first 2 shown]
	v_add_f16_e32 v96, v29, v25
	v_add_f16_e32 v97, v6, v5
	v_sub_f16_e32 v102, v29, v25
	v_sub_f16_e32 v103, v6, v5
	v_add_f16_e32 v7, v22, v7
	v_add_f16_e32 v22, v26, v47
	v_sub_f16_e32 v25, v25, v32
	v_sub_f16_e32 v5, v5, v4
	;; [unrolled: 1-line block ×4, first 2 shown]
	v_add_f16_e32 v26, v96, v32
	v_add_f16_e32 v4, v97, v4
	;; [unrolled: 1-line block ×4, first 2 shown]
	v_mul_f16_e32 v28, 0x3a52, v28
	v_mul_f16_e32 v31, 0x3a52, v31
	;; [unrolled: 1-line block ×8, first 2 shown]
	v_fmamk_f16 v7, v7, 0xbcab, v18
	v_fmamk_f16 v22, v22, 0xbcab, v32
	;; [unrolled: 1-line block ×4, first 2 shown]
	v_fma_f16 v47, v48, 0x39e0, -v47
	v_fma_f16 v96, v95, 0x39e0, -v96
	;; [unrolled: 1-line block ×4, first 2 shown]
	v_fmamk_f16 v48, v29, 0xb574, v97
	v_fmamk_f16 v95, v6, 0xb574, v101
	v_fma_f16 v29, v29, 0x3574, -v102
	v_fma_f16 v6, v6, 0x3574, -v103
	;; [unrolled: 1-line block ×4, first 2 shown]
	v_add_f16_e32 v20, v20, v7
	v_add_f16_e32 v33, v33, v22
	v_fmac_f16_e32 v48, 0xb70e, v26
	v_fmac_f16_e32 v95, 0xb70e, v4
	v_add_f16_e32 v47, v47, v7
	v_add_f16_e32 v96, v96, v22
	;; [unrolled: 1-line block ×4, first 2 shown]
	v_fmac_f16_e32 v6, 0xb70e, v4
	v_fmac_f16_e32 v29, 0xb70e, v26
	;; [unrolled: 1-line block ×4, first 2 shown]
	v_pack_b32_f16 v17, v17, v34
	v_add_f16_e32 v4, v95, v20
	v_sub_f16_e32 v26, v33, v48
	v_add_f16_e32 v28, v6, v7
	v_sub_f16_e32 v31, v22, v29
	v_pack_b32_f16 v8, v8, v23
	v_sub_f16_e32 v97, v47, v5
	v_add_f16_e32 v101, v25, v96
	ds_store_b32 v61, v17
	v_pack_b32_f16 v17, v24, v27
	v_add_f16_e32 v5, v5, v47
	v_sub_f16_e32 v25, v96, v25
	v_pack_b32_f16 v23, v98, v99
	v_sub_f16_e32 v6, v7, v6
	v_add_f16_e32 v7, v29, v22
	v_pack_b32_f16 v9, v9, v30
	v_sub_f16_e32 v20, v20, v95
	v_add_f16_e32 v22, v48, v33
	v_pack_b32_f16 v10, v10, v11
	v_pack_b32_f16 v4, v4, v26
	;; [unrolled: 1-line block ×4, first 2 shown]
	ds_store_b32 v100, v8 offset:1152
	ds_store_b32 v100, v17 offset:2304
	;; [unrolled: 1-line block ×7, first 2 shown]
	v_pack_b32_f16 v8, v28, v31
	v_pack_b32_f16 v9, v97, v101
	v_pack_b32_f16 v5, v5, v25
	v_pack_b32_f16 v6, v6, v7
	v_pack_b32_f16 v7, v20, v22
	ds_store_b32 v100, v4 offset:1600
	ds_store_b32 v100, v8 offset:2752
	;; [unrolled: 1-line block ×6, first 2 shown]
	s_and_saveexec_b32 s0, vcc_lo
	s_cbranch_execz .LBB0_9
; %bb.8:
	v_mul_f16_e32 v5, v38, v90
	v_mul_f16_e32 v6, v42, v94
	;; [unrolled: 1-line block ×6, first 2 shown]
	v_fmac_f16_e32 v5, v2, v16
	v_mul_f16_e32 v8, v40, v93
	v_fmac_f16_e32 v6, v0, v92
	v_fmac_f16_e32 v7, v14, v45
	v_fma_f16 v9, v14, v46, -v9
	v_mul_f16_e32 v14, v41, v36
	v_mul_f16_e32 v18, v40, v91
	v_fma_f16 v0, v0, v94, -v11
	v_mul_f16_e32 v11, v38, v16
	v_mul_f16_e32 v16, v39, v35
	v_fmac_f16_e32 v4, v3, v35
	v_fmac_f16_e32 v8, v1, v91
	v_mul_f16_e32 v17, v41, v44
	v_fma_f16 v14, v13, v44, -v14
	v_fma_f16 v1, v1, v93, -v18
	;; [unrolled: 1-line block ×4, first 2 shown]
	v_fmac_f16_e32 v17, v13, v36
	v_add_f16_e32 v11, v9, v0
	v_add_f16_e32 v13, v14, v1
	v_sub_f16_e32 v19, v6, v7
	v_add_f16_e32 v18, v3, v2
	v_add_f16_e32 v6, v7, v6
	;; [unrolled: 1-line block ×4, first 2 shown]
	v_sub_f16_e32 v2, v3, v2
	v_sub_f16_e32 v22, v11, v18
	;; [unrolled: 1-line block ×4, first 2 shown]
	v_add_f16_e32 v20, v18, v20
	v_sub_f16_e32 v18, v18, v13
	v_mul_f16_e32 v22, 0x3a52, v22
	v_sub_f16_e32 v10, v4, v5
	v_add_f16_e32 v4, v4, v5
	v_sub_f16_e32 v16, v8, v17
	v_add_f16_e32 v17, v7, v6
	v_fmamk_f16 v26, v18, 0x2b26, v22
	v_mul_f16_e32 v8, 0x2b26, v18
	v_sub_f16_e32 v9, v2, v1
	v_sub_f16_e32 v18, v0, v2
	v_add_f16_e32 v2, v2, v1
	v_sub_f16_e32 v3, v6, v4
	v_sub_f16_e32 v21, v10, v16
	v_add_f16_e32 v24, v49, v20
	v_add_f16_e32 v17, v4, v17
	v_sub_f16_e32 v23, v19, v10
	v_add_f16_e32 v10, v10, v16
	v_sub_f16_e32 v16, v16, v19
	;; [unrolled: 2-line block ×3, first 2 shown]
	v_mul_f16_e32 v3, 0x3a52, v3
	v_sub_f16_e32 v4, v4, v7
	v_mul_f16_e32 v21, 0x3846, v21
	v_fmamk_f16 v20, v20, 0xbcab, v24
	v_add_f16_e32 v15, v15, v17
	v_mul_f16_e32 v9, 0x3846, v9
	v_sub_f16_e32 v11, v13, v11
	v_mul_f16_e32 v27, 0xbb00, v16
	v_sub_f16_e32 v6, v7, v6
	v_mul_f16_e32 v7, 0xbb00, v0
	v_add_f16_e32 v10, v10, v19
	v_fmamk_f16 v19, v4, 0x2b26, v3
	v_mul_f16_e32 v4, 0x2b26, v4
	v_fmamk_f16 v25, v23, 0xb574, v21
	v_add_f16_e32 v5, v26, v20
	v_fmamk_f16 v17, v17, 0xbcab, v15
	v_fmamk_f16 v26, v18, 0xb574, v9
	v_fma_f16 v22, v11, 0xb9e0, -v22
	v_fma_f16 v8, v11, 0x39e0, -v8
	;; [unrolled: 1-line block ×8, first 2 shown]
	v_fmac_f16_e32 v25, 0xb70e, v10
	v_add_f16_e32 v19, v19, v17
	v_fmac_f16_e32 v26, 0xb70e, v2
	v_add_f16_e32 v8, v8, v20
	v_fmac_f16_e32 v11, 0xb70e, v10
	v_fmac_f16_e32 v1, 0xb70e, v10
	v_add_f16_e32 v16, v22, v20
	v_add_f16_e32 v3, v3, v17
	v_fmac_f16_e32 v7, 0xb70e, v2
	v_fmac_f16_e32 v0, 0xb70e, v2
	v_add_f16_e32 v2, v4, v17
	v_add_f16_e32 v14, v25, v5
	v_sub_f16_e32 v10, v8, v11
	v_add_f16_e32 v4, v11, v8
	v_sub_f16_e32 v5, v5, v25
	v_add_f16_e32 v11, v26, v19
	v_add_f16_e32 v6, v1, v16
	v_sub_f16_e32 v9, v3, v7
	v_sub_f16_e32 v1, v16, v1
	v_add_f16_e32 v3, v7, v3
	v_sub_f16_e32 v7, v2, v0
	v_add_f16_e32 v0, v0, v2
	v_sub_f16_e32 v13, v19, v26
	v_pack_b32_f16 v8, v15, v24
	v_pack_b32_f16 v2, v11, v5
	;; [unrolled: 1-line block ×6, first 2 shown]
	ds_store_b32 v61, v8 offset:896
	v_pack_b32_f16 v5, v13, v14
	ds_store_b32 v100, v2 offset:2048
	ds_store_b32 v100, v1 offset:3200
	ds_store_b32 v100, v3 offset:4352
	ds_store_b32 v100, v0 offset:5504
	ds_store_b32 v100, v4 offset:6656
	ds_store_b32 v100, v5 offset:7808
.LBB0_9:
	s_wait_alu 0xfffe
	s_or_b32 exec_lo, exec_lo, s0
	global_wb scope:SCOPE_SE
	s_wait_dscnt 0x0
	s_barrier_signal -1
	s_barrier_wait -1
	global_inv scope:SCOPE_SE
	ds_load_2addr_b32 v[2:3], v61 offset1:112
	v_add_nc_u32_e32 v0, 0xc00, v61
	s_mov_b32 s8, 0x10410410
	s_mov_b32 s9, 0x3f404104
	ds_load_2addr_b32 v[0:1], v0 offset0:128 offset1:240
	s_wait_dscnt 0x1
	v_lshrrev_b32_e32 v4, 16, v2
	v_mul_f16_e32 v5, v89, v2
	v_lshrrev_b32_e32 v15, 16, v3
	s_delay_alu instid0(VALU_DEP_3) | instskip(NEXT) | instid1(VALU_DEP_3)
	v_mul_f16_e32 v6, v89, v4
	v_fma_f16 v4, v85, v4, -v5
	s_wait_dscnt 0x0
	v_lshrrev_b32_e32 v8, 16, v1
	v_mul_f16_e32 v7, v88, v1
	v_mul_f16_e32 v9, v87, v15
	v_fmac_f16_e32 v6, v85, v2
	v_cvt_f32_f16_e32 v2, v4
	v_mul_f16_e32 v13, v88, v8
	s_delay_alu instid0(VALU_DEP_4) | instskip(NEXT) | instid1(VALU_DEP_4)
	v_fmac_f16_e32 v9, v82, v3
	v_cvt_f32_f16_e32 v6, v6
	s_delay_alu instid0(VALU_DEP_4) | instskip(SKIP_4) | instid1(VALU_DEP_4)
	v_cvt_f64_f32_e32 v[4:5], v2
	v_fma_f16 v2, v84, v8, -v7
	v_fmac_f16_e32 v13, v84, v1
	v_cvt_f32_f16_e32 v10, v9
	v_cvt_f64_f32_e32 v[6:7], v6
	v_cvt_f32_f16_e32 v2, v2
	s_delay_alu instid0(VALU_DEP_4) | instskip(NEXT) | instid1(VALU_DEP_4)
	v_cvt_f32_f16_e32 v1, v13
	v_cvt_f64_f32_e32 v[10:11], v10
	s_delay_alu instid0(VALU_DEP_3) | instskip(SKIP_1) | instid1(VALU_DEP_4)
	v_cvt_f64_f32_e32 v[8:9], v2
	v_mul_f16_e32 v2, v87, v3
	v_cvt_f64_f32_e32 v[13:14], v1
	s_delay_alu instid0(VALU_DEP_2) | instskip(SKIP_1) | instid1(VALU_DEP_2)
	v_fma_f16 v3, v82, v15, -v2
	v_mad_co_u64_u32 v[15:16], null, s6, v12, 0
	v_cvt_f32_f16_e32 v3, v3
	s_delay_alu instid0(VALU_DEP_1)
	v_cvt_f64_f32_e32 v[17:18], v3
	s_wait_alu 0xfffe
	v_mul_f64_e32 v[19:20], s[8:9], v[4:5]
	v_mad_co_u64_u32 v[3:4], null, s4, v78, 0
	v_mul_f64_e32 v[5:6], s[8:9], v[6:7]
	v_mov_b32_e32 v7, v16
	v_mul_f64_e32 v[10:11], s[8:9], v[10:11]
	v_mul_f64_e32 v[8:9], s[8:9], v[8:9]
	s_delay_alu instid0(VALU_DEP_4) | instskip(NEXT) | instid1(VALU_DEP_3)
	v_bfe_u32 v25, v6, 20, 11
	v_and_or_b32 v10, 0x1ff, v11, v10
	s_delay_alu instid0(VALU_DEP_2)
	v_sub_nc_u32_e32 v31, 0x3f1, v25
	v_lshrrev_b32_e32 v29, 8, v11
	v_mad_co_u64_u32 v[21:22], null, s7, v12, v[7:8]
	v_add_nc_u32_e32 v1, 0x1000, v61
	v_mad_co_u64_u32 v[22:23], null, s5, v78, v[4:5]
	v_mul_f64_e32 v[12:13], s[8:9], v[13:14]
	v_and_or_b32 v5, 0x1ff, v6, v5
	v_and_or_b32 v8, 0x1ff, v9, v8
	v_mov_b32_e32 v16, v21
	ds_load_2addr_b32 v[1:2], v1 offset0:96 offset1:208
	v_lshrrev_b32_e32 v23, 8, v6
	v_mov_b32_e32 v4, v22
	v_bfe_u32 v28, v9, 20, 11
	v_lshlrev_b64_e32 v[14:15], 2, v[15:16]
	v_mul_f64_e32 v[16:17], s[8:9], v[17:18]
	v_lshrrev_b32_e32 v18, 8, v20
	v_lshlrev_b64_e32 v[21:22], 2, v[3:4]
	v_lshrrev_b32_e32 v27, 8, v9
	v_sub_nc_u32_e32 v33, 0x3f1, v28
	v_add_co_u32 v3, vcc_lo, s2, v14
	s_wait_alu 0xfffd
	v_add_co_ci_u32_e32 v4, vcc_lo, s3, v15, vcc_lo
	v_lshrrev_b32_e32 v6, 16, v6
	v_bfe_u32 v30, v11, 20, 11
	v_lshrrev_b32_e32 v11, 16, v11
	s_mul_u64 s[6:7], s[4:5], 0xfc0
	s_wait_dscnt 0x0
	v_lshrrev_b32_e32 v24, 16, v1
	s_delay_alu instid0(VALU_DEP_1) | instskip(NEXT) | instid1(VALU_DEP_1)
	v_mul_f16_e32 v7, v86, v24
	v_fmac_f16_e32 v7, v80, v1
	v_mul_f16_e32 v1, v86, v1
	v_and_or_b32 v12, 0x1ff, v13, v12
	s_delay_alu instid0(VALU_DEP_3) | instskip(SKIP_1) | instid1(VALU_DEP_4)
	v_cvt_f32_f16_e32 v7, v7
	v_bfe_u32 v32, v13, 20, 11
	v_fma_f16 v1, v80, v24, -v1
	s_delay_alu instid0(VALU_DEP_3)
	v_cvt_f64_f32_e32 v[14:15], v7
	v_and_or_b32 v7, 0x1ff, v20, v19
	v_bfe_u32 v19, v20, 20, 11
	v_sub_nc_u32_e32 v35, 0x3f1, v32
	v_add_nc_u32_e32 v32, 0xfffffc10, v32
	v_lshrrev_b32_e32 v20, 16, v20
	v_cmp_ne_u32_e32 vcc_lo, 0, v7
	v_sub_nc_u32_e32 v26, 0x3f1, v19
	v_add_nc_u32_e32 v19, 0xfffffc10, v19
	v_cvt_f32_f16_e32 v1, v1
	s_wait_alu 0xfffd
	v_cndmask_b32_e64 v7, 0, 1, vcc_lo
	v_cmp_ne_u32_e32 vcc_lo, 0, v5
	s_delay_alu instid0(VALU_DEP_2)
	v_and_or_b32 v7, 0xffe, v18, v7
	s_wait_alu 0xfffd
	v_cndmask_b32_e64 v5, 0, 1, vcc_lo
	v_cmp_ne_u32_e32 vcc_lo, 0, v8
	v_med3_i32 v18, v26, 0, 13
	v_lshrrev_b32_e32 v26, 8, v13
	v_lshl_or_b32 v34, v19, 12, v7
	v_and_or_b32 v5, 0xffe, v23, v5
	s_wait_alu 0xfffd
	v_cndmask_b32_e64 v8, 0, 1, vcc_lo
	v_cmp_ne_u32_e32 vcc_lo, 0, v10
	v_med3_i32 v23, v31, 0, 13
	v_or_b32_e32 v31, 0x1000, v7
	v_add_nc_u32_e32 v25, 0xfffffc10, v25
	v_and_or_b32 v8, 0xffe, v27, v8
	s_wait_alu 0xfffd
	v_cndmask_b32_e64 v10, 0, 1, vcc_lo
	v_cmp_ne_u32_e32 vcc_lo, 0, v7
	v_med3_i32 v27, v33, 0, 13
	v_or_b32_e32 v33, 0x1000, v5
	v_lshrrev_b32_e32 v37, v18, v31
	v_lshl_or_b32 v36, v25, 12, v5
	s_wait_alu 0xfffd
	v_cndmask_b32_e64 v7, 0, 1, vcc_lo
	v_cmp_ne_u32_e32 vcc_lo, 0, v12
	v_lshrrev_b32_e32 v39, v23, v33
	v_lshlrev_b32_e32 v18, v18, v37
	v_lshrrev_b32_e32 v13, 16, v13
	v_lshl_or_b32 v7, v7, 9, 0x7c00
	s_wait_alu 0xfffd
	v_cndmask_b32_e64 v12, 0, 1, vcc_lo
	v_cmp_ne_u32_e32 vcc_lo, 0, v5
	v_lshlrev_b32_e32 v23, v23, v39
	s_delay_alu instid0(VALU_DEP_3)
	v_and_or_b32 v12, 0xffe, v26, v12
	s_wait_alu 0xfffd
	v_cndmask_b32_e64 v5, 0, 1, vcc_lo
	v_med3_i32 v26, v35, 0, 13
	v_or_b32_e32 v35, 0x1000, v8
	v_cmp_ne_u32_e32 vcc_lo, 0, v12
	v_or_b32_e32 v40, 0x1000, v12
	v_lshl_or_b32 v41, v32, 12, v12
	s_delay_alu instid0(VALU_DEP_4)
	v_lshrrev_b32_e32 v42, v27, v35
	v_lshl_or_b32 v5, v5, 9, 0x7c00
	s_wait_alu 0xfffd
	v_cndmask_b32_e64 v12, 0, 1, vcc_lo
	v_cmp_ne_u32_e32 vcc_lo, v18, v31
	v_lshrrev_b32_e32 v31, v26, v40
	v_lshlrev_b32_e32 v27, v27, v42
	s_delay_alu instid0(VALU_DEP_4) | instskip(SKIP_4) | instid1(VALU_DEP_3)
	v_lshl_or_b32 v12, v12, 9, 0x7c00
	s_wait_alu 0xfffd
	v_cndmask_b32_e64 v18, 0, 1, vcc_lo
	v_cmp_ne_u32_e32 vcc_lo, v23, v33
	v_lshlrev_b32_e32 v26, v26, v31
	v_or_b32_e32 v18, v37, v18
	s_wait_alu 0xfffd
	v_cndmask_b32_e64 v23, 0, 1, vcc_lo
	v_cmp_ne_u32_e32 vcc_lo, v27, v35
	s_delay_alu instid0(VALU_DEP_2) | instskip(SKIP_3) | instid1(VALU_DEP_2)
	v_or_b32_e32 v23, v39, v23
	s_wait_alu 0xfffd
	v_cndmask_b32_e64 v27, 0, 1, vcc_lo
	v_cmp_gt_i32_e32 vcc_lo, 1, v19
	v_or_b32_e32 v27, v42, v27
	s_wait_alu 0xfffd
	v_cndmask_b32_e32 v18, v34, v18, vcc_lo
	v_cmp_gt_i32_e32 vcc_lo, 1, v25
	v_add_nc_u32_e32 v28, 0xfffffc10, v28
	s_delay_alu instid0(VALU_DEP_3)
	v_and_b32_e32 v33, 7, v18
	s_wait_alu 0xfffd
	v_cndmask_b32_e32 v23, v36, v23, vcc_lo
	v_cmp_ne_u32_e32 vcc_lo, v26, v40
	v_lshl_or_b32 v38, v28, 12, v8
	v_lshrrev_b32_e32 v18, 2, v18
	v_cmp_lt_i32_e64 s1, 5, v33
	v_and_b32_e32 v34, 7, v23
	s_wait_alu 0xfffd
	v_cndmask_b32_e64 v26, 0, 1, vcc_lo
	v_cmp_gt_i32_e32 vcc_lo, 1, v28
	v_lshrrev_b32_e32 v23, 2, v23
	v_cmp_eq_u32_e64 s2, 3, v33
	v_cmp_eq_u32_e64 s0, 3, v34
	v_or_b32_e32 v26, v31, v26
	s_wait_alu 0xfffd
	v_cndmask_b32_e32 v27, v38, v27, vcc_lo
	v_cmp_lt_i32_e32 vcc_lo, 5, v34
	v_cmp_gt_i32_e64 s3, 1, v32
	s_or_b32 vcc_lo, s0, vcc_lo
	s_delay_alu instid0(VALU_DEP_1)
	v_cndmask_b32_e64 v26, v41, v26, s3
	s_wait_alu 0xfffe
	v_add_co_ci_u32_e32 v23, vcc_lo, 0, v23, vcc_lo
	s_or_b32 vcc_lo, s2, s1
	v_cmp_eq_u32_e64 s1, 0x40f, v25
	s_wait_alu 0xfffe
	v_add_co_ci_u32_e32 v18, vcc_lo, 0, v18, vcc_lo
	v_cmp_gt_i32_e32 vcc_lo, 31, v25
	v_and_b32_e32 v31, 7, v26
	v_lshrrev_b32_e32 v26, 2, v26
	s_wait_alu 0xfffd
	v_cndmask_b32_e32 v23, 0x7c00, v23, vcc_lo
	v_cmp_gt_i32_e32 vcc_lo, 31, v19
	v_cmp_eq_u32_e64 s0, 3, v31
	s_wait_alu 0xf1ff
	s_delay_alu instid0(VALU_DEP_3)
	v_cndmask_b32_e64 v5, v23, v5, s1
	s_wait_alu 0xfffd
	v_cndmask_b32_e32 v18, 0x7c00, v18, vcc_lo
	v_cmp_lt_i32_e32 vcc_lo, 5, v31
	v_cmp_eq_u32_e64 s1, 0x40f, v19
	v_and_or_b32 v19, 0xffe, v29, v10
	v_and_or_b32 v5, 0x8000, v6, v5
	v_and_b32_e32 v6, 7, v27
	s_or_b32 vcc_lo, s0, vcc_lo
	v_cndmask_b32_e64 v7, v18, v7, s1
	s_wait_alu 0xfffe
	v_add_co_ci_u32_e32 v18, vcc_lo, 0, v26, vcc_lo
	v_cmp_gt_i32_e32 vcc_lo, 31, v32
	v_and_b32_e32 v5, 0xffff, v5
	v_and_or_b32 v7, 0x8000, v20, v7
	v_cmp_eq_u32_e64 s1, 0x40f, v32
	v_cmp_eq_u32_e64 s0, 3, v6
	s_wait_alu 0xfffd
	v_cndmask_b32_e32 v18, 0x7c00, v18, vcc_lo
	v_cmp_lt_i32_e32 vcc_lo, 5, v6
	v_sub_nc_u32_e32 v6, 0x3f1, v30
	s_wait_alu 0xf1ff
	s_delay_alu instid0(VALU_DEP_3)
	v_cndmask_b32_e64 v12, v18, v12, s1
	v_lshl_or_b32 v18, v7, 16, v5
	v_lshrrev_b32_e32 v5, 2, v27
	s_or_b32 vcc_lo, s0, vcc_lo
	v_med3_i32 v10, v6, 0, 13
	v_and_or_b32 v12, 0x8000, v13, v12
	s_wait_alu 0xfffe
	v_add_co_ci_u32_e32 v5, vcc_lo, 0, v5, vcc_lo
	v_cmp_ne_u32_e32 vcc_lo, 0, v8
	v_or_b32_e32 v8, 0x1000, v19
	v_and_b32_e32 v25, 0xffff, v12
	s_wait_alu 0xfffd
	v_cndmask_b32_e64 v7, 0, 1, vcc_lo
	v_cmp_gt_i32_e32 vcc_lo, 31, v28
	v_lshrrev_b32_e32 v23, v10, v8
	s_delay_alu instid0(VALU_DEP_3)
	v_lshl_or_b32 v7, v7, 9, 0x7c00
	s_wait_alu 0xfffd
	v_cndmask_b32_e32 v20, 0x7c00, v5, vcc_lo
	v_add_co_u32 v5, vcc_lo, v3, v21
	s_wait_alu 0xfffd
	v_add_co_ci_u32_e32 v6, vcc_lo, v4, v22, vcc_lo
	v_lshlrev_b32_e32 v10, v10, v23
	v_cmp_eq_u32_e32 vcc_lo, 0x40f, v28
	global_store_b32 v[5:6], v18, off
	s_wait_alu 0xfffd
	v_cndmask_b32_e32 v13, v20, v7, vcc_lo
	v_and_or_b32 v7, 0x1ff, v17, v16
	v_add_nc_u32_e32 v16, 0xfffffc10, v30
	v_cmp_ne_u32_e32 vcc_lo, v10, v8
	v_lshrrev_b32_e32 v20, 16, v9
	s_delay_alu instid0(VALU_DEP_3)
	v_lshl_or_b32 v21, v16, 12, v19
	s_wait_alu 0xfffd
	v_cndmask_b32_e64 v9, 0, 1, vcc_lo
	v_cmp_ne_u32_e32 vcc_lo, 0, v7
	v_mul_f64_e32 v[7:8], s[8:9], v[14:15]
	v_lshrrev_b32_e32 v14, 8, v17
	v_bfe_u32 v15, v17, 20, 11
	v_or_b32_e32 v9, v23, v9
	s_wait_alu 0xfffd
	v_cndmask_b32_e64 v10, 0, 1, vcc_lo
	v_cmp_gt_i32_e32 vcc_lo, 1, v16
	v_add_nc_u32_e32 v23, 0x200, v61
	v_and_or_b32 v20, 0x8000, v20, v13
	v_lshrrev_b32_e32 v17, 16, v17
	v_and_or_b32 v22, 0xffe, v14, v10
	v_sub_nc_u32_e32 v14, 0x3f1, v15
	s_wait_alu 0xfffd
	v_cndmask_b32_e32 v21, v21, v9, vcc_lo
	v_cvt_f64_f32_e32 v[9:10], v1
	ds_load_2addr_b32 v[12:13], v23 offset0:96 offset1:208
	v_or_b32_e32 v1, 0x1000, v22
	v_med3_i32 v14, v14, 0, 13
	v_and_b32_e32 v24, 7, v21
	v_lshrrev_b32_e32 v18, 2, v21
	v_add_nc_u32_e32 v21, 0xfffffc10, v15
	v_lshl_or_b32 v20, v20, 16, v25
	v_lshrrev_b32_e32 v23, v14, v1
	v_cmp_lt_i32_e32 vcc_lo, 5, v24
	v_cmp_eq_u32_e64 s0, 3, v24
	s_delay_alu instid0(VALU_DEP_3) | instskip(NEXT) | instid1(VALU_DEP_2)
	v_lshlrev_b32_e32 v14, v14, v23
	s_or_b32 vcc_lo, s0, vcc_lo
	s_wait_alu 0xfffe
	v_add_co_ci_u32_e32 v18, vcc_lo, 0, v18, vcc_lo
	s_delay_alu instid0(VALU_DEP_2)
	v_cmp_ne_u32_e32 vcc_lo, v14, v1
	s_wait_alu 0xfffd
	v_cndmask_b32_e64 v1, 0, 1, vcc_lo
	v_cmp_gt_i32_e32 vcc_lo, 31, v16
	v_and_or_b32 v7, 0x1ff, v8, v7
	v_bfe_u32 v24, v8, 20, 11
	s_delay_alu instid0(VALU_DEP_4)
	v_or_b32_e32 v1, v23, v1
	s_wait_alu 0xfffd
	v_cndmask_b32_e32 v14, 0x7c00, v18, vcc_lo
	v_cmp_ne_u32_e32 vcc_lo, 0, v19
	v_lshl_or_b32 v18, v21, 12, v22
	s_wait_dscnt 0x0
	v_lshrrev_b32_e32 v19, 16, v12
	v_lshrrev_b32_e32 v23, 8, v8
	s_wait_alu 0xfffd
	v_cndmask_b32_e64 v15, 0, 1, vcc_lo
	v_cmp_gt_i32_e32 vcc_lo, 1, v21
	v_mul_f64_e32 v[9:10], s[8:9], v[9:10]
	s_delay_alu instid0(VALU_DEP_3) | instskip(SKIP_4) | instid1(VALU_DEP_3)
	v_lshl_or_b32 v15, v15, 9, 0x7c00
	s_wait_alu 0xfffd
	v_cndmask_b32_e32 v1, v18, v1, vcc_lo
	v_mul_f16_e32 v18, v83, v19
	v_cmp_ne_u32_e32 vcc_lo, 0, v7
	v_and_b32_e32 v25, 7, v1
	s_delay_alu instid0(VALU_DEP_3)
	v_fmac_f16_e32 v18, v77, v12
	s_wait_alu 0xfffd
	v_cndmask_b32_e64 v7, 0, 1, vcc_lo
	v_cmp_eq_u32_e32 vcc_lo, 0x40f, v16
	v_lshrrev_b32_e32 v1, 2, v1
	v_cmp_eq_u32_e64 s0, 3, v25
	v_mul_f16_e32 v12, v83, v12
	v_and_or_b32 v7, 0xffe, v23, v7
	s_wait_alu 0xfffd
	v_cndmask_b32_e32 v16, v14, v15, vcc_lo
	v_cvt_f32_f16_e32 v14, v18
	v_sub_nc_u32_e32 v18, 0x3f1, v24
	v_cmp_lt_i32_e32 vcc_lo, 5, v25
	v_or_b32_e32 v23, 0x1000, v7
	v_and_or_b32 v16, 0x8000, v11, v16
	v_cvt_f64_f32_e32 v[14:15], v14
	v_med3_i32 v18, v18, 0, 13
	s_or_b32 vcc_lo, s0, vcc_lo
	v_fma_f16 v12, v77, v19, -v12
	s_wait_alu 0xfffe
	v_add_co_ci_u32_e32 v1, vcc_lo, 0, v1, vcc_lo
	v_lshrrev_b32_e32 v11, v18, v23
	v_cmp_ne_u32_e32 vcc_lo, 0, v22
	v_cvt_f32_f16_e32 v12, v12
	v_and_b32_e32 v16, 0xffff, v16
	s_movk_i32 s0, 0xf200
	v_lshlrev_b32_e32 v18, v18, v11
	s_wait_alu 0xfffd
	v_cndmask_b32_e64 v22, 0, 1, vcc_lo
	v_cmp_gt_i32_e32 vcc_lo, 31, v21
	s_mov_b32 s1, -1
	v_and_or_b32 v9, 0x1ff, v10, v9
	s_wait_alu 0xfffe
	s_mul_u64 s[2:3], s[4:5], s[0:1]
	v_lshl_or_b32 v19, v22, 9, 0x7c00
	s_wait_alu 0xfffd
	v_cndmask_b32_e32 v1, 0x7c00, v1, vcc_lo
	v_cmp_ne_u32_e32 vcc_lo, v18, v23
	v_add_nc_u32_e32 v22, 0xfffffc10, v24
	v_lshrrev_b32_e32 v25, 16, v2
	s_wait_alu 0xfffd
	v_cndmask_b32_e64 v18, 0, 1, vcc_lo
	v_cmp_eq_u32_e32 vcc_lo, 0x40f, v21
	s_delay_alu instid0(VALU_DEP_2)
	v_or_b32_e32 v18, v11, v18
	s_wait_alu 0xfffd
	v_cndmask_b32_e32 v1, v1, v19, vcc_lo
	v_lshl_or_b32 v19, v22, 12, v7
	v_cmp_gt_i32_e32 vcc_lo, 1, v22
	v_cvt_f64_f32_e32 v[11:12], v12
	s_delay_alu instid0(VALU_DEP_4)
	v_and_or_b32 v1, 0x8000, v17, v1
	s_wait_alu 0xfffd
	v_cndmask_b32_e32 v17, v19, v18, vcc_lo
	v_cmp_ne_u32_e32 vcc_lo, 0, v9
	v_lshrrev_b32_e32 v18, 8, v10
	v_bfe_u32 v19, v10, 20, 11
	v_lshl_or_b32 v21, v1, 16, v16
	v_mul_f64_e32 v[14:15], s[8:9], v[14:15]
	s_wait_alu 0xfffd
	v_cndmask_b32_e64 v9, 0, 1, vcc_lo
	v_and_b32_e32 v16, 7, v17
	v_add_co_u32 v5, vcc_lo, v5, s6
	s_wait_alu 0xfffd
	v_add_co_ci_u32_e32 v6, vcc_lo, s7, v6, vcc_lo
	v_and_or_b32 v1, 0xffe, v18, v9
	v_sub_nc_u32_e32 v9, 0x3f1, v19
	v_cmp_lt_i32_e32 vcc_lo, 5, v16
	v_cmp_eq_u32_e64 s0, 3, v16
	v_lshrrev_b32_e32 v23, 2, v17
	v_or_b32_e32 v18, 0x1000, v1
	v_med3_i32 v9, v9, 0, 13
	v_add_nc_u32_e32 v26, 0xfffffc10, v19
	s_or_b32 vcc_lo, s0, vcc_lo
	v_mul_f16_e32 v19, v81, v25
	s_wait_alu 0xfffe
	v_add_co_ci_u32_e32 v23, vcc_lo, 0, v23, vcc_lo
	v_lshrrev_b32_e32 v24, v9, v18
	v_cmp_ne_u32_e32 vcc_lo, 0, v7
	v_fmac_f16_e32 v19, v75, v2
	v_mul_f16_e32 v2, v81, v2
	v_add_co_u32 v16, s1, v5, s2
	v_lshlrev_b32_e32 v9, v9, v24
	s_wait_alu 0xfffd
	v_cndmask_b32_e64 v7, 0, 1, vcc_lo
	v_fma_f16 v2, v75, v25, -v2
	s_wait_alu 0xf1ff
	v_add_co_ci_u32_e64 v17, s1, s3, v6, s1
	v_cmp_ne_u32_e32 vcc_lo, v9, v18
	v_mul_f64_e32 v[11:12], s[8:9], v[11:12]
	v_lshl_or_b32 v7, v7, 9, 0x7c00
	s_clause 0x1
	global_store_b32 v[5:6], v20, off
	global_store_b32 v[16:17], v21, off
	v_lshrrev_b32_e32 v10, 16, v10
	s_wait_alu 0xfffd
	v_cndmask_b32_e64 v9, 0, 1, vcc_lo
	v_cmp_gt_i32_e32 vcc_lo, 31, v22
	v_and_or_b32 v14, 0x1ff, v15, v14
	s_delay_alu instid0(VALU_DEP_3)
	v_or_b32_e32 v9, v24, v9
	s_wait_alu 0xfffd
	v_cndmask_b32_e32 v18, 0x7c00, v23, vcc_lo
	v_cmp_eq_u32_e32 vcc_lo, 0x40f, v22
	v_lshl_or_b32 v23, v26, 12, v1
	v_bfe_u32 v24, v15, 20, 11
	s_wait_alu 0xfffd
	v_cndmask_b32_e32 v22, v18, v7, vcc_lo
	v_cmp_gt_i32_e32 vcc_lo, 1, v26
	s_wait_alu 0xfffd
	v_cndmask_b32_e32 v7, v23, v9, vcc_lo
	v_cvt_f32_f16_e32 v9, v19
	v_cmp_ne_u32_e32 vcc_lo, 0, v14
	v_lshrrev_b32_e32 v23, 8, v15
	v_lshrrev_b32_e32 v15, 16, v15
	v_and_b32_e32 v27, 7, v7
	v_cvt_f64_f32_e32 v[18:19], v9
	s_wait_alu 0xfffd
	v_cndmask_b32_e64 v14, 0, 1, vcc_lo
	v_lshrrev_b32_e32 v7, 2, v7
	v_lshrrev_b32_e32 v9, 16, v8
	v_cmp_lt_i32_e32 vcc_lo, 5, v27
	v_cmp_eq_u32_e64 s0, 3, v27
	v_and_or_b32 v14, 0xffe, v23, v14
	v_sub_nc_u32_e32 v8, 0x3f1, v24
	v_add_nc_u32_e32 v24, 0xfffffc10, v24
	v_and_or_b32 v9, 0x8000, v9, v22
	s_or_b32 vcc_lo, s0, vcc_lo
	v_and_or_b32 v11, 0x1ff, v12, v11
	s_wait_alu 0xfffe
	v_add_co_ci_u32_e32 v7, vcc_lo, 0, v7, vcc_lo
	v_cmp_ne_u32_e32 vcc_lo, 0, v1
	v_or_b32_e32 v23, 0x1000, v14
	v_med3_i32 v8, v8, 0, 13
	v_bfe_u32 v29, v12, 20, 11
	v_lshrrev_b32_e32 v28, 8, v12
	s_wait_alu 0xfffd
	v_cndmask_b32_e64 v1, 0, 1, vcc_lo
	v_cmp_gt_i32_e32 vcc_lo, 31, v26
	v_lshrrev_b32_e32 v27, v8, v23
	v_and_b32_e32 v9, 0xffff, v9
	s_delay_alu instid0(VALU_DEP_4)
	v_lshl_or_b32 v25, v1, 9, 0x7c00
	s_wait_alu 0xfffd
	v_cndmask_b32_e32 v7, 0x7c00, v7, vcc_lo
	v_cvt_f32_f16_e32 v1, v2
	v_cmp_ne_u32_e32 vcc_lo, 0, v11
	v_lshlrev_b32_e32 v8, v8, v27
	s_delay_alu instid0(VALU_DEP_3) | instskip(SKIP_3) | instid1(VALU_DEP_2)
	v_cvt_f64_f32_e32 v[1:2], v1
	s_wait_alu 0xfffd
	v_cndmask_b32_e64 v11, 0, 1, vcc_lo
	v_cmp_eq_u32_e32 vcc_lo, 0x40f, v26
	v_and_or_b32 v11, 0xffe, v28, v11
	s_wait_alu 0xfffd
	v_cndmask_b32_e32 v25, v7, v25, vcc_lo
	v_sub_nc_u32_e32 v7, 0x3f1, v29
	v_cmp_ne_u32_e32 vcc_lo, v8, v23
	v_or_b32_e32 v26, 0x1000, v11
	s_delay_alu instid0(VALU_DEP_4) | instskip(NEXT) | instid1(VALU_DEP_4)
	v_and_or_b32 v10, 0x8000, v10, v25
	v_med3_i32 v28, v7, 0, 13
	v_mul_f64_e32 v[7:8], s[8:9], v[18:19]
	s_wait_alu 0xfffd
	v_cndmask_b32_e64 v23, 0, 1, vcc_lo
	v_lshl_or_b32 v19, v24, 12, v14
	v_cmp_gt_i32_e32 vcc_lo, 1, v24
	v_lshrrev_b32_e32 v22, v28, v26
	v_lshl_or_b32 v20, v10, 16, v9
	v_or_b32_e32 v18, v27, v23
	s_wait_alu 0xfffd
	s_delay_alu instid0(VALU_DEP_1) | instskip(SKIP_1) | instid1(VALU_DEP_2)
	v_cndmask_b32_e32 v18, v19, v18, vcc_lo
	v_lshlrev_b32_e32 v19, v28, v22
	v_and_b32_e32 v5, 7, v18
	s_delay_alu instid0(VALU_DEP_2) | instskip(SKIP_1) | instid1(VALU_DEP_3)
	v_cmp_ne_u32_e32 vcc_lo, v19, v26
	v_add_nc_u32_e32 v19, 0xfffffc10, v29
	v_cmp_eq_u32_e64 s0, 3, v5
	s_wait_alu 0xfffd
	v_cndmask_b32_e64 v6, 0, 1, vcc_lo
	v_cmp_lt_i32_e32 vcc_lo, 5, v5
	v_lshrrev_b32_e32 v5, 2, v18
	v_mul_f64_e32 v[1:2], s[8:9], v[1:2]
	v_lshl_or_b32 v9, v19, 12, v11
	v_or_b32_e32 v6, v22, v6
	s_or_b32 vcc_lo, s0, vcc_lo
	v_lshrrev_b32_e32 v18, 16, v13
	s_wait_alu 0xfffe
	v_add_co_ci_u32_e32 v10, vcc_lo, 0, v5, vcc_lo
	v_cmp_gt_i32_e32 vcc_lo, 1, v19
	s_wait_alu 0xfffd
	v_cndmask_b32_e32 v21, v9, v6, vcc_lo
	v_add_co_u32 v5, vcc_lo, v16, s6
	s_wait_alu 0xfffd
	v_add_co_ci_u32_e32 v6, vcc_lo, s7, v17, vcc_lo
	v_cmp_gt_i32_e32 vcc_lo, 31, v24
	v_and_or_b32 v7, 0x1ff, v8, v7
	v_and_b32_e32 v17, 7, v21
	v_lshrrev_b32_e32 v22, 8, v8
	v_bfe_u32 v23, v8, 20, 11
	s_wait_alu 0xfffd
	v_cndmask_b32_e32 v16, 0x7c00, v10, vcc_lo
	v_cmp_ne_u32_e32 vcc_lo, 0, v14
	v_cmp_ne_u32_e64 s0, 0, v7
	v_mul_f16_e32 v9, v79, v18
	global_store_b32 v[5:6], v20, off
	v_lshrrev_b32_e32 v8, 16, v8
	s_wait_alu 0xfffd
	v_cndmask_b32_e64 v14, 0, 1, vcc_lo
	v_cmp_lt_i32_e32 vcc_lo, 5, v17
	s_wait_alu 0xf1ff
	v_cndmask_b32_e64 v7, 0, 1, s0
	v_cmp_eq_u32_e64 s0, 3, v17
	v_lshrrev_b32_e32 v17, 2, v21
	v_lshl_or_b32 v14, v14, 9, 0x7c00
	v_sub_nc_u32_e32 v21, 0x3f1, v23
	v_and_or_b32 v7, 0xffe, v22, v7
	s_or_b32 vcc_lo, s0, vcc_lo
	v_fmac_f16_e32 v9, v73, v13
	s_wait_alu 0xfffe
	v_add_co_ci_u32_e32 v17, vcc_lo, 0, v17, vcc_lo
	v_cmp_eq_u32_e32 vcc_lo, 0x40f, v24
	v_or_b32_e32 v22, 0x1000, v7
	v_med3_i32 v21, v21, 0, 13
	v_and_or_b32 v1, 0x1ff, v2, v1
	v_mul_f16_e32 v13, v79, v13
	s_wait_alu 0xfffd
	v_cndmask_b32_e32 v16, v16, v14, vcc_lo
	v_cmp_gt_i32_e32 vcc_lo, 31, v19
	v_lshrrev_b32_e32 v14, v21, v22
	v_lshrrev_b32_e32 v24, 8, v2
	v_fma_f16 v13, v73, v18, -v13
	v_bfe_u32 v18, v2, 20, 11
	s_wait_alu 0xfffd
	v_cndmask_b32_e32 v17, 0x7c00, v17, vcc_lo
	v_cmp_ne_u32_e32 vcc_lo, 0, v11
	v_lshlrev_b32_e32 v21, v21, v14
	v_and_or_b32 v15, 0x8000, v15, v16
	v_cvt_f32_f16_e32 v9, v9
	v_cvt_f32_f16_e32 v13, v13
	s_wait_alu 0xfffd
	v_cndmask_b32_e64 v11, 0, 1, vcc_lo
	v_cmp_ne_u32_e32 vcc_lo, 0, v1
	v_lshrrev_b32_e32 v2, 16, v2
	v_cvt_f64_f32_e32 v[9:10], v9
	s_delay_alu instid0(VALU_DEP_4)
	v_lshl_or_b32 v11, v11, 9, 0x7c00
	s_wait_alu 0xfffd
	v_cndmask_b32_e64 v1, 0, 1, vcc_lo
	v_cmp_ne_u32_e32 vcc_lo, v21, v22
	v_add_nc_u32_e32 v22, 0xfffffc10, v23
	v_sub_nc_u32_e32 v23, 0x3f1, v18
	v_add_nc_u32_e32 v18, 0xfffffc10, v18
	v_and_or_b32 v1, 0xffe, v24, v1
	s_wait_alu 0xfffd
	v_cndmask_b32_e64 v21, 0, 1, vcc_lo
	v_lshl_or_b32 v24, v22, 12, v7
	v_med3_i32 v23, v23, 0, 13
	v_cmp_gt_i32_e32 vcc_lo, 1, v22
	v_or_b32_e32 v25, 0x1000, v1
	v_or_b32_e32 v21, v14, v21
	v_lshl_or_b32 v20, v18, 12, v1
	v_cvt_f64_f32_e32 v[13:14], v13
	s_wait_alu 0xfffd
	s_delay_alu instid0(VALU_DEP_3) | instskip(SKIP_3) | instid1(VALU_DEP_4)
	v_cndmask_b32_e32 v21, v24, v21, vcc_lo
	v_lshrrev_b32_e32 v24, v23, v25
	v_cmp_eq_u32_e32 vcc_lo, 0x40f, v19
	v_lshrrev_b32_e32 v19, 16, v12
	v_and_b32_e32 v27, 7, v21
	s_delay_alu instid0(VALU_DEP_4) | instskip(SKIP_2) | instid1(VALU_DEP_3)
	v_lshlrev_b32_e32 v23, v23, v24
	s_wait_alu 0xfffd
	v_cndmask_b32_e32 v17, v17, v11, vcc_lo
	v_cmp_lt_i32_e32 vcc_lo, 5, v27
	s_delay_alu instid0(VALU_DEP_3) | instskip(NEXT) | instid1(VALU_DEP_3)
	v_cmp_ne_u32_e64 s0, v23, v25
	v_and_or_b32 v17, 0x8000, v19, v17
	v_and_b32_e32 v19, 0xffff, v15
	v_lshrrev_b32_e32 v15, 2, v21
	s_wait_alu 0xf1ff
	v_cndmask_b32_e64 v16, 0, 1, s0
	v_cmp_eq_u32_e64 s0, 3, v27
	v_mul_f64_e32 v[9:10], s[8:9], v[9:10]
	s_delay_alu instid0(VALU_DEP_3) | instskip(NEXT) | instid1(VALU_DEP_3)
	v_or_b32_e32 v16, v24, v16
	s_or_b32 vcc_lo, s0, vcc_lo
	s_wait_alu 0xfffe
	v_add_co_ci_u32_e32 v15, vcc_lo, 0, v15, vcc_lo
	v_cmp_gt_i32_e32 vcc_lo, 1, v18
	s_wait_alu 0xfffd
	v_cndmask_b32_e32 v16, v20, v16, vcc_lo
	v_cmp_ne_u32_e32 vcc_lo, 0, v7
	v_mul_f64_e32 v[13:14], s[8:9], v[13:14]
	s_wait_alu 0xfffd
	v_cndmask_b32_e64 v7, 0, 1, vcc_lo
	v_cmp_gt_i32_e32 vcc_lo, 31, v22
	s_delay_alu instid0(VALU_DEP_2) | instskip(SKIP_3) | instid1(VALU_DEP_1)
	v_lshl_or_b32 v7, v7, 9, 0x7c00
	s_wait_alu 0xfffd
	v_cndmask_b32_e32 v21, 0x7c00, v15, vcc_lo
	v_and_b32_e32 v15, 7, v16
	v_cmp_lt_i32_e32 vcc_lo, 5, v15
	v_cmp_eq_u32_e64 s0, 3, v15
	v_lshrrev_b32_e32 v15, 2, v16
	s_delay_alu instid0(VALU_DEP_2) | instskip(SKIP_1) | instid1(VALU_DEP_1)
	s_or_b32 vcc_lo, s0, vcc_lo
	s_wait_alu 0xfffe
	v_add_co_ci_u32_e32 v25, vcc_lo, 0, v15, vcc_lo
	v_cmp_ne_u32_e32 vcc_lo, 0, v1
	v_and_or_b32 v9, 0x1ff, v10, v9
	v_lshrrev_b32_e32 v24, 8, v10
	s_wait_alu 0xfffd
	v_cndmask_b32_e64 v1, 0, 1, vcc_lo
	v_cmp_gt_i32_e32 vcc_lo, 31, v18
	v_cmp_ne_u32_e64 s1, 0, v9
	s_delay_alu instid0(VALU_DEP_3)
	v_lshl_or_b32 v1, v1, 9, 0x7c00
	s_wait_alu 0xfffd
	v_cndmask_b32_e32 v25, 0x7c00, v25, vcc_lo
	v_cmp_eq_u32_e32 vcc_lo, 0x40f, v22
	v_add_nc_u32_e32 v26, 0x1400, v61
	s_wait_alu 0xf1ff
	v_cndmask_b32_e64 v9, 0, 1, s1
	v_lshl_or_b32 v22, v17, 16, v19
	s_wait_alu 0xfffd
	v_cndmask_b32_e32 v7, v21, v7, vcc_lo
	ds_load_2addr_b32 v[11:12], v26 offset0:64 offset1:176
	v_and_or_b32 v9, 0xffe, v24, v9
	v_cmp_eq_u32_e32 vcc_lo, 0x40f, v18
	v_and_or_b32 v18, 0x8000, v8, v7
	s_delay_alu instid0(VALU_DEP_3) | instskip(SKIP_1) | instid1(VALU_DEP_2)
	v_or_b32_e32 v26, 0x1000, v9
	s_wait_alu 0xfffd
	v_dual_cndmask_b32 v1, v25, v1 :: v_dual_and_b32 v18, 0xffff, v18
	s_delay_alu instid0(VALU_DEP_1) | instskip(SKIP_2) | instid1(VALU_DEP_3)
	v_and_or_b32 v19, 0x8000, v2, v1
	v_and_or_b32 v2, 0x1ff, v14, v13
	v_lshrrev_b32_e32 v13, 8, v14
	v_lshl_or_b32 v25, v19, 16, v18
	s_wait_dscnt 0x0
	v_lshrrev_b32_e32 v20, 16, v11
	s_delay_alu instid0(VALU_DEP_1) | instskip(NEXT) | instid1(VALU_DEP_1)
	v_mul_f16_e32 v23, v76, v20
	v_fmac_f16_e32 v23, v71, v11
	v_mul_f16_e32 v11, v76, v11
	s_delay_alu instid0(VALU_DEP_2) | instskip(SKIP_1) | instid1(VALU_DEP_3)
	v_cvt_f32_f16_e32 v16, v23
	v_bfe_u32 v23, v10, 20, 11
	v_fma_f16 v1, v71, v20, -v11
	v_bfe_u32 v20, v14, 20, 11
	v_lshrrev_b32_e32 v10, 16, v10
	v_cvt_f64_f32_e32 v[15:16], v16
	v_sub_nc_u32_e32 v24, 0x3f1, v23
	v_cvt_f32_f16_e32 v1, v1
	v_add_nc_u32_e32 v11, 0xfffffc10, v23
	v_lshrrev_b32_e32 v14, 16, v14
	s_delay_alu instid0(VALU_DEP_4) | instskip(NEXT) | instid1(VALU_DEP_3)
	v_med3_i32 v24, v24, 0, 13
	v_lshl_or_b32 v23, v11, 12, v9
	s_delay_alu instid0(VALU_DEP_2) | instskip(NEXT) | instid1(VALU_DEP_1)
	v_lshrrev_b32_e32 v21, v24, v26
	v_lshlrev_b32_e32 v17, v24, v21
	v_sub_nc_u32_e32 v24, 0x3f1, v20
	s_delay_alu instid0(VALU_DEP_2) | instskip(NEXT) | instid1(VALU_DEP_2)
	v_cmp_ne_u32_e32 vcc_lo, v17, v26
	v_med3_i32 v24, v24, 0, 13
	s_wait_alu 0xfffd
	v_cndmask_b32_e64 v7, 0, 1, vcc_lo
	v_cmp_ne_u32_e32 vcc_lo, 0, v2
	v_cvt_f64_f32_e32 v[1:2], v1
	s_delay_alu instid0(VALU_DEP_3) | instskip(SKIP_4) | instid1(VALU_DEP_3)
	v_or_b32_e32 v17, v21, v7
	s_wait_alu 0xfffd
	v_cndmask_b32_e64 v8, 0, 1, vcc_lo
	v_add_nc_u32_e32 v21, 0x600, v61
	v_cmp_gt_i32_e32 vcc_lo, 1, v11
	v_and_or_b32 v13, 0xffe, v13, v8
	v_mul_f64_e32 v[7:8], s[8:9], v[15:16]
	ds_load_2addr_b32 v[15:16], v21 offset0:64 offset1:176
	s_wait_alu 0xfffd
	v_cndmask_b32_e32 v21, v23, v17, vcc_lo
	v_add_co_u32 v5, vcc_lo, v5, s2
	v_or_b32_e32 v23, 0x1000, v13
	s_wait_alu 0xfffd
	v_add_co_ci_u32_e32 v6, vcc_lo, s3, v6, vcc_lo
	v_and_b32_e32 v19, 7, v21
	v_add_co_u32 v17, vcc_lo, v5, s6
	v_lshrrev_b32_e32 v26, v24, v23
	s_wait_alu 0xfffd
	v_add_co_ci_u32_e32 v18, vcc_lo, s7, v6, vcc_lo
	v_cmp_lt_i32_e32 vcc_lo, 5, v19
	v_cmp_eq_u32_e64 s0, 3, v19
	v_lshlrev_b32_e32 v24, v24, v26
	v_lshrrev_b32_e32 v19, 2, v21
	global_store_b32 v[5:6], v22, off
	global_store_b32 v[17:18], v25, off
	s_or_b32 vcc_lo, s0, vcc_lo
	v_cmp_ne_u32_e64 s1, v24, v23
	s_wait_alu 0xfffe
	v_add_co_ci_u32_e32 v19, vcc_lo, 0, v19, vcc_lo
	v_add_nc_u32_e32 v23, 0xfffffc10, v20
	v_cmp_ne_u32_e32 vcc_lo, 0, v9
	s_wait_alu 0xf1ff
	v_cndmask_b32_e64 v21, 0, 1, s1
	s_wait_dscnt 0x0
	v_lshrrev_b32_e32 v27, 16, v15
	v_mul_f64_e32 v[1:2], s[8:9], v[1:2]
	v_lshl_or_b32 v24, v23, 12, v13
	s_wait_alu 0xfffd
	v_cndmask_b32_e64 v9, 0, 1, vcc_lo
	v_or_b32_e32 v21, v26, v21
	v_cmp_gt_i32_e32 vcc_lo, 1, v23
	v_mul_f16_e32 v20, v74, v27
	s_delay_alu instid0(VALU_DEP_4)
	v_lshl_or_b32 v9, v9, 9, 0x7c00
	s_wait_alu 0xfffd
	v_cndmask_b32_e32 v21, v24, v21, vcc_lo
	v_and_or_b32 v7, 0x1ff, v8, v7
	v_cmp_gt_i32_e32 vcc_lo, 31, v11
	v_fmac_f16_e32 v20, v69, v15
	v_lshrrev_b32_e32 v28, 8, v8
	v_and_b32_e32 v26, 7, v21
	v_bfe_u32 v29, v8, 20, 11
	s_wait_alu 0xfffd
	v_cndmask_b32_e32 v24, 0x7c00, v19, vcc_lo
	v_cmp_ne_u32_e32 vcc_lo, 0, v7
	v_cvt_f32_f16_e32 v20, v20
	v_cmp_eq_u32_e64 s0, 3, v26
	v_lshrrev_b32_e32 v21, 2, v21
	v_lshrrev_b32_e32 v8, 16, v8
	s_wait_alu 0xfffd
	v_cndmask_b32_e64 v7, 0, 1, vcc_lo
	v_cmp_eq_u32_e32 vcc_lo, 0x40f, v11
	v_cvt_f64_f32_e32 v[19:20], v20
	v_sub_nc_u32_e32 v11, 0x3f1, v29
	s_delay_alu instid0(VALU_DEP_4)
	v_and_or_b32 v7, 0xffe, v28, v7
	s_wait_alu 0xfffd
	v_cndmask_b32_e32 v9, v24, v9, vcc_lo
	v_cmp_lt_i32_e32 vcc_lo, 5, v26
	v_med3_i32 v11, v11, 0, 13
	v_or_b32_e32 v24, 0x1000, v7
	s_delay_alu instid0(VALU_DEP_4)
	v_and_or_b32 v26, 0x8000, v10, v9
	s_or_b32 vcc_lo, s0, vcc_lo
	s_wait_alu 0xfffe
	v_add_co_ci_u32_e32 v21, vcc_lo, 0, v21, vcc_lo
	v_cmp_ne_u32_e32 vcc_lo, 0, v13
	v_lshrrev_b32_e32 v28, v11, v24
	v_and_or_b32 v1, 0x1ff, v2, v1
	s_wait_alu 0xfffd
	v_cndmask_b32_e64 v13, 0, 1, vcc_lo
	v_cmp_gt_i32_e32 vcc_lo, 31, v23
	v_lshlrev_b32_e32 v11, v11, v28
	s_delay_alu instid0(VALU_DEP_3)
	v_lshl_or_b32 v10, v13, 9, 0x7c00
	s_wait_alu 0xfffd
	v_cndmask_b32_e32 v9, 0x7c00, v21, vcc_lo
	v_cmp_eq_u32_e32 vcc_lo, 0x40f, v23
	v_mul_f16_e32 v13, v74, v15
	v_bfe_u32 v23, v2, 20, 11
	s_wait_alu 0xfffd
	v_cndmask_b32_e32 v15, v9, v10, vcc_lo
	v_cmp_ne_u32_e32 vcc_lo, v11, v24
	v_fma_f16 v9, v69, v27, -v13
	v_lshrrev_b32_e32 v13, 8, v2
	v_lshrrev_b32_e32 v2, 16, v2
	v_and_or_b32 v14, 0x8000, v14, v15
	s_wait_alu 0xfffd
	v_cndmask_b32_e64 v11, 0, 1, vcc_lo
	v_cmp_ne_u32_e32 vcc_lo, 0, v1
	v_cvt_f32_f16_e32 v21, v9
	v_mul_f64_e32 v[9:10], s[8:9], v[19:20]
	v_and_b32_e32 v15, 0xffff, v26
	v_or_b32_e32 v11, v28, v11
	s_wait_alu 0xfffd
	v_cndmask_b32_e64 v1, 0, 1, vcc_lo
	v_add_nc_u32_e32 v24, 0xfffffc10, v29
	v_cvt_f64_f32_e32 v[19:20], v21
	v_lshl_or_b32 v15, v14, 16, v15
	s_delay_alu instid0(VALU_DEP_4) | instskip(SKIP_3) | instid1(VALU_DEP_4)
	v_and_or_b32 v1, 0xffe, v13, v1
	v_sub_nc_u32_e32 v13, 0x3f1, v23
	v_lshl_or_b32 v21, v24, 12, v7
	v_cmp_gt_i32_e32 vcc_lo, 1, v24
	v_or_b32_e32 v27, 0x1000, v1
	s_delay_alu instid0(VALU_DEP_4) | instskip(SKIP_3) | instid1(VALU_DEP_3)
	v_med3_i32 v13, v13, 0, 13
	s_wait_alu 0xfffd
	v_cndmask_b32_e32 v11, v21, v11, vcc_lo
	v_add_co_u32 v5, vcc_lo, v17, s2
	v_lshrrev_b32_e32 v21, v13, v27
	s_wait_alu 0xfffd
	v_add_co_ci_u32_e32 v6, vcc_lo, s3, v18, vcc_lo
	v_and_b32_e32 v14, 7, v11
	v_lshrrev_b32_e32 v11, 2, v11
	v_lshlrev_b32_e32 v13, v13, v21
	v_cmp_eq_u32_e64 s1, 0x40f, v24
	global_store_b32 v[5:6], v15, off
	v_cmp_lt_i32_e32 vcc_lo, 5, v14
	v_cmp_ne_u32_e64 s0, v13, v27
	s_wait_alu 0xf1ff
	s_delay_alu instid0(VALU_DEP_1) | instskip(SKIP_2) | instid1(VALU_DEP_3)
	v_cndmask_b32_e64 v13, 0, 1, s0
	v_cmp_eq_u32_e64 s0, 3, v14
	v_and_or_b32 v9, 0x1ff, v10, v9
	v_or_b32_e32 v13, v21, v13
	v_add_nc_u32_e32 v22, 0xfffffc10, v23
	v_lshrrev_b32_e32 v23, 16, v12
	s_or_b32 vcc_lo, s0, vcc_lo
	v_bfe_u32 v25, v10, 20, 11
	s_wait_alu 0xfffe
	v_add_co_ci_u32_e32 v11, vcc_lo, 0, v11, vcc_lo
	v_lshl_or_b32 v14, v22, 12, v1
	v_mul_f16_e32 v17, v72, v23
	v_cmp_gt_i32_e32 vcc_lo, 1, v22
	s_delay_alu instid0(VALU_DEP_2)
	v_fmac_f16_e32 v17, v67, v12
	s_wait_alu 0xfffd
	v_cndmask_b32_e32 v21, v14, v13, vcc_lo
	v_cmp_ne_u32_e32 vcc_lo, 0, v7
	v_mul_f64_e32 v[13:14], s[8:9], v[19:20]
	v_lshrrev_b32_e32 v20, 8, v10
	v_cvt_f32_f16_e32 v17, v17
	v_and_b32_e32 v19, 7, v21
	s_wait_alu 0xfffd
	v_cndmask_b32_e64 v7, 0, 1, vcc_lo
	v_cmp_ne_u32_e32 vcc_lo, 0, v9
	v_lshrrev_b32_e32 v10, 16, v10
	v_cvt_f64_f32_e32 v[17:18], v17
	v_cmp_eq_u32_e64 s0, 3, v19
	v_lshl_or_b32 v7, v7, 9, 0x7c00
	s_wait_alu 0xfffd
	v_cndmask_b32_e64 v9, 0, 1, vcc_lo
	v_cmp_gt_i32_e32 vcc_lo, 31, v24
	s_delay_alu instid0(VALU_DEP_2)
	v_and_or_b32 v9, 0xffe, v20, v9
	s_wait_alu 0xfffd
	v_cndmask_b32_e32 v11, 0x7c00, v11, vcc_lo
	v_sub_nc_u32_e32 v20, 0x3f1, v25
	v_cmp_lt_i32_e32 vcc_lo, 5, v19
	v_or_b32_e32 v19, 0x1000, v9
	s_delay_alu instid0(VALU_DEP_4) | instskip(SKIP_3) | instid1(VALU_DEP_3)
	v_cndmask_b32_e64 v7, v11, v7, s1
	v_lshrrev_b32_e32 v11, 2, v21
	v_med3_i32 v20, v20, 0, 13
	s_or_b32 vcc_lo, s0, vcc_lo
	v_and_or_b32 v24, 0x8000, v8, v7
	s_wait_alu 0xfffe
	v_add_co_ci_u32_e32 v11, vcc_lo, 0, v11, vcc_lo
	v_lshrrev_b32_e32 v21, v20, v19
	v_cmp_ne_u32_e32 vcc_lo, 0, v1
	s_delay_alu instid0(VALU_DEP_2) | instskip(SKIP_3) | instid1(VALU_DEP_2)
	v_lshlrev_b32_e32 v7, v20, v21
	s_wait_alu 0xfffd
	v_cndmask_b32_e64 v1, 0, 1, vcc_lo
	v_cmp_gt_i32_e32 vcc_lo, 31, v22
	v_lshl_or_b32 v1, v1, 9, 0x7c00
	s_wait_alu 0xfffd
	v_cndmask_b32_e32 v8, 0x7c00, v11, vcc_lo
	v_cmp_ne_u32_e32 vcc_lo, v7, v19
	v_mul_f16_e32 v11, v72, v12
	v_and_or_b32 v12, 0x1ff, v14, v13
	v_add_nc_u32_e32 v19, 0xfffffc10, v25
	s_wait_alu 0xfffd
	v_cndmask_b32_e64 v7, 0, 1, vcc_lo
	v_cmp_eq_u32_e32 vcc_lo, 0x40f, v22
	v_fma_f16 v11, v67, v23, -v11
	v_lshl_or_b32 v20, v19, 12, v9
	v_lshrrev_b32_e32 v22, 8, v14
	v_or_b32_e32 v13, v21, v7
	s_wait_alu 0xfffd
	v_cndmask_b32_e32 v1, v8, v1, vcc_lo
	v_cmp_ne_u32_e32 vcc_lo, 0, v12
	v_mul_f64_e32 v[7:8], s[8:9], v[17:18]
	v_bfe_u32 v17, v14, 20, 11
	v_cvt_f32_f16_e32 v11, v11
	v_and_or_b32 v1, 0x8000, v2, v1
	v_and_b32_e32 v2, 0xffff, v24
	s_wait_alu 0xfffd
	v_cndmask_b32_e64 v21, 0, 1, vcc_lo
	v_cmp_gt_i32_e32 vcc_lo, 1, v19
	v_cvt_f64_f32_e32 v[11:12], v11
	v_lshrrev_b32_e32 v14, 16, v14
	v_lshl_or_b32 v23, v1, 16, v2
	v_and_or_b32 v18, 0xffe, v22, v21
	s_wait_alu 0xfffd
	v_cndmask_b32_e32 v13, v20, v13, vcc_lo
	v_sub_nc_u32_e32 v20, 0x3f1, v17
	v_add_co_u32 v1, s1, v5, s6
	v_or_b32_e32 v22, 0x1000, v18
	s_delay_alu instid0(VALU_DEP_4) | instskip(NEXT) | instid1(VALU_DEP_4)
	v_and_b32_e32 v21, 7, v13
	v_med3_i32 v20, v20, 0, 13
	v_lshrrev_b32_e32 v5, 2, v13
	s_wait_alu 0xf1ff
	v_add_co_ci_u32_e64 v2, s1, s7, v6, s1
	v_cmp_lt_i32_e32 vcc_lo, 5, v21
	v_lshrrev_b32_e32 v15, v20, v22
	v_cmp_eq_u32_e64 s0, 3, v21
	v_lshrrev_b32_e32 v21, 16, v16
	v_add_nc_u32_e32 v17, 0xfffffc10, v17
	global_store_b32 v[1:2], v23, off
	v_lshlrev_b32_e32 v6, v20, v15
	s_or_b32 vcc_lo, s0, vcc_lo
	v_mul_f16_e32 v13, v70, v21
	s_wait_alu 0xfffe
	v_add_co_ci_u32_e32 v20, vcc_lo, 0, v5, vcc_lo
	v_cmp_ne_u32_e32 vcc_lo, v6, v22
	v_lshl_or_b32 v22, v17, 12, v18
	v_fmac_f16_e32 v13, v65, v16
	v_add_co_u32 v1, s1, v1, s2
	s_wait_alu 0xfffd
	v_cndmask_b32_e64 v5, 0, 1, vcc_lo
	v_cmp_ne_u32_e32 vcc_lo, 0, v9
	v_and_or_b32 v7, 0x1ff, v8, v7
	v_cvt_f32_f16_e32 v13, v13
	s_wait_alu 0xf1ff
	v_add_co_ci_u32_e64 v2, s1, s3, v2, s1
	s_wait_alu 0xfffd
	v_cndmask_b32_e64 v9, 0, 1, vcc_lo
	v_or_b32_e32 v15, v15, v5
	v_cmp_gt_i32_e32 vcc_lo, 1, v17
	v_mul_f64_e32 v[5:6], s[8:9], v[11:12]
	v_cvt_f64_f32_e32 v[11:12], v13
	v_lshl_or_b32 v9, v9, 9, 0x7c00
	v_lshrrev_b32_e32 v13, 8, v8
	s_wait_alu 0xfffd
	v_cndmask_b32_e32 v15, v22, v15, vcc_lo
	v_cmp_ne_u32_e32 vcc_lo, 0, v7
	v_bfe_u32 v22, v8, 20, 11
	s_delay_alu instid0(VALU_DEP_3) | instskip(SKIP_3) | instid1(VALU_DEP_3)
	v_and_b32_e32 v24, 7, v15
	s_wait_alu 0xfffd
	v_cndmask_b32_e64 v7, 0, 1, vcc_lo
	v_cmp_gt_i32_e32 vcc_lo, 31, v19
	v_cmp_eq_u32_e64 s0, 3, v24
	s_delay_alu instid0(VALU_DEP_3)
	v_and_or_b32 v7, 0xffe, v13, v7
	s_wait_alu 0xfffd
	v_cndmask_b32_e32 v20, 0x7c00, v20, vcc_lo
	v_cmp_eq_u32_e32 vcc_lo, 0x40f, v19
	v_sub_nc_u32_e32 v13, 0x3f1, v22
	v_or_b32_e32 v19, 0x1000, v7
	s_wait_alu 0xfffd
	v_cndmask_b32_e32 v9, v20, v9, vcc_lo
	v_cmp_lt_i32_e32 vcc_lo, 5, v24
	v_med3_i32 v13, v13, 0, 13
	s_delay_alu instid0(VALU_DEP_3)
	v_and_or_b32 v20, 0x8000, v10, v9
	v_lshrrev_b32_e32 v9, 2, v15
	s_or_b32 vcc_lo, s0, vcc_lo
	v_mul_f16_e32 v10, v70, v16
	v_lshrrev_b32_e32 v15, v13, v19
	s_wait_alu 0xfffe
	v_add_co_ci_u32_e32 v9, vcc_lo, 0, v9, vcc_lo
	v_cmp_ne_u32_e32 vcc_lo, 0, v18
	v_fma_f16 v10, v65, v21, -v10
	v_lshlrev_b32_e32 v13, v13, v15
	v_and_or_b32 v5, 0x1ff, v6, v5
	v_mul_f64_e32 v[11:12], s[8:9], v[11:12]
	s_wait_alu 0xfffd
	v_cndmask_b32_e64 v16, 0, 1, vcc_lo
	v_cmp_gt_i32_e32 vcc_lo, 31, v17
	v_add_nc_u32_e32 v21, 0x1800, v61
	s_delay_alu instid0(VALU_DEP_3)
	v_lshl_or_b32 v16, v16, 9, 0x7c00
	s_wait_alu 0xfffd
	v_cndmask_b32_e32 v18, 0x7c00, v9, vcc_lo
	v_cvt_f32_f16_e32 v9, v10
	v_cmp_ne_u32_e32 vcc_lo, v13, v19
	v_add_nc_u32_e32 v19, 0xfffffc10, v22
	v_bfe_u32 v22, v6, 20, 11
	s_delay_alu instid0(VALU_DEP_4) | instskip(SKIP_3) | instid1(VALU_DEP_2)
	v_cvt_f64_f32_e32 v[9:10], v9
	s_wait_alu 0xfffd
	v_cndmask_b32_e64 v13, 0, 1, vcc_lo
	v_cmp_eq_u32_e32 vcc_lo, 0x40f, v17
	v_or_b32_e32 v13, v15, v13
	s_wait_alu 0xfffd
	v_cndmask_b32_e32 v17, v18, v16, vcc_lo
	ds_load_2addr_b32 v[15:16], v21 offset0:32 offset1:144
	v_cmp_ne_u32_e32 vcc_lo, 0, v5
	v_lshl_or_b32 v18, v19, 12, v7
	v_lshrrev_b32_e32 v21, 8, v6
	v_and_or_b32 v14, 0x8000, v14, v17
	v_and_b32_e32 v17, 0xffff, v20
	s_wait_alu 0xfffd
	v_cndmask_b32_e64 v5, 0, 1, vcc_lo
	v_cmp_gt_i32_e32 vcc_lo, 1, v19
	s_delay_alu instid0(VALU_DEP_3) | instskip(NEXT) | instid1(VALU_DEP_3)
	v_lshl_or_b32 v17, v14, 16, v17
	v_and_or_b32 v5, 0xffe, v21, v5
	s_wait_alu 0xfffd
	v_cndmask_b32_e32 v13, v18, v13, vcc_lo
	v_sub_nc_u32_e32 v18, 0x3f1, v22
	global_store_b32 v[1:2], v17, off
	v_or_b32_e32 v21, 0x1000, v5
	v_and_b32_e32 v20, 7, v13
	v_med3_i32 v18, v18, 0, 13
	v_lshrrev_b32_e32 v13, 2, v13
	v_and_or_b32 v11, 0x1ff, v12, v11
	s_delay_alu instid0(VALU_DEP_4) | instskip(SKIP_4) | instid1(VALU_DEP_3)
	v_cmp_lt_i32_e32 vcc_lo, 5, v20
	v_cmp_eq_u32_e64 s0, 3, v20
	v_lshrrev_b32_e32 v14, v18, v21
	s_wait_dscnt 0x0
	v_lshrrev_b32_e32 v20, 16, v15
	s_or_b32 vcc_lo, s0, vcc_lo
	s_delay_alu instid0(VALU_DEP_2) | instskip(NEXT) | instid1(VALU_DEP_2)
	v_lshlrev_b32_e32 v18, v18, v14
	v_mul_f16_e32 v23, v68, v20
	v_mul_f64_e32 v[9:10], s[8:9], v[9:10]
	s_wait_alu 0xfffe
	v_add_co_ci_u32_e32 v24, vcc_lo, 0, v13, vcc_lo
	v_cmp_ne_u32_e32 vcc_lo, v18, v21
	v_fmac_f16_e32 v23, v63, v15
	v_add_nc_u32_e32 v18, 0xfffffc10, v22
	v_lshrrev_b32_e32 v22, 8, v12
	v_mul_f16_e32 v15, v68, v15
	s_wait_alu 0xfffd
	v_cndmask_b32_e64 v13, 0, 1, vcc_lo
	v_cvt_f32_f16_e32 v21, v23
	v_cmp_ne_u32_e32 vcc_lo, 0, v11
	v_bfe_u32 v23, v12, 20, 11
	v_fma_f16 v15, v63, v20, -v15
	v_or_b32_e32 v25, v14, v13
	v_cvt_f64_f32_e32 v[13:14], v21
	s_wait_alu 0xfffd
	v_cndmask_b32_e64 v11, 0, 1, vcc_lo
	v_cmp_ne_u32_e32 vcc_lo, 0, v7
	v_lshl_or_b32 v21, v18, 12, v5
	v_cvt_f32_f16_e32 v15, v15
	v_lshrrev_b32_e32 v12, 16, v12
	v_and_or_b32 v11, 0xffe, v22, v11
	s_wait_alu 0xfffd
	v_cndmask_b32_e64 v7, 0, 1, vcc_lo
	v_cmp_gt_i32_e32 vcc_lo, 1, v18
	v_sub_nc_u32_e32 v22, 0x3f1, v23
	s_delay_alu instid0(VALU_DEP_3)
	v_lshl_or_b32 v7, v7, 9, 0x7c00
	s_wait_alu 0xfffd
	v_cndmask_b32_e32 v21, v21, v25, vcc_lo
	v_cmp_gt_i32_e32 vcc_lo, 31, v19
	v_or_b32_e32 v25, 0x1000, v11
	v_med3_i32 v22, v22, 0, 13
	s_delay_alu instid0(VALU_DEP_4)
	v_and_b32_e32 v26, 7, v21
	s_wait_alu 0xfffd
	v_cndmask_b32_e32 v24, 0x7c00, v24, vcc_lo
	v_cmp_eq_u32_e32 vcc_lo, 0x40f, v19
	v_lshrrev_b32_e32 v17, v22, v25
	v_cmp_eq_u32_e64 s0, 3, v26
	v_and_or_b32 v9, 0x1ff, v10, v9
	s_wait_alu 0xfffd
	v_cndmask_b32_e32 v19, v24, v7, vcc_lo
	v_cmp_lt_i32_e32 vcc_lo, 5, v26
	v_lshrrev_b32_e32 v24, 16, v8
	v_lshrrev_b32_e32 v8, 2, v21
	v_lshlrev_b32_e32 v7, v22, v17
	v_add_nc_u32_e32 v21, 0xfffffc10, v23
	s_or_b32 vcc_lo, s0, vcc_lo
	v_lshrrev_b32_e32 v23, 8, v10
	s_wait_alu 0xfffe
	v_add_co_ci_u32_e32 v20, vcc_lo, 0, v8, vcc_lo
	v_cmp_ne_u32_e64 s1, v7, v25
	v_cmp_ne_u32_e32 vcc_lo, 0, v9
	v_lshl_or_b32 v22, v21, 12, v11
	v_and_or_b32 v19, 0x8000, v24, v19
	s_wait_alu 0xf1ff
	v_cndmask_b32_e64 v7, 0, 1, s1
	s_wait_alu 0xfffd
	v_cndmask_b32_e64 v9, 0, 1, vcc_lo
	v_cmp_ne_u32_e32 vcc_lo, 0, v5
	v_and_b32_e32 v19, 0xffff, v19
	v_or_b32_e32 v17, v17, v7
	v_mul_f64_e32 v[7:8], s[8:9], v[13:14]
	v_cvt_f64_f32_e32 v[13:14], v15
	v_bfe_u32 v15, v10, 20, 11
	s_wait_alu 0xfffd
	v_cndmask_b32_e64 v5, 0, 1, vcc_lo
	v_cmp_gt_i32_e32 vcc_lo, 1, v21
	v_and_or_b32 v9, 0xffe, v23, v9
	s_delay_alu instid0(VALU_DEP_3)
	v_lshl_or_b32 v5, v5, 9, 0x7c00
	s_wait_alu 0xfffd
	v_cndmask_b32_e32 v17, v22, v17, vcc_lo
	v_sub_nc_u32_e32 v22, 0x3f1, v15
	v_cmp_gt_i32_e32 vcc_lo, 31, v18
	v_or_b32_e32 v25, 0x1000, v9
	v_add_nc_u32_e32 v15, 0xfffffc10, v15
	v_and_b32_e32 v23, 7, v17
	v_med3_i32 v22, v22, 0, 13
	s_wait_alu 0xfffd
	v_cndmask_b32_e32 v20, 0x7c00, v20, vcc_lo
	v_cmp_eq_u32_e32 vcc_lo, 0x40f, v18
	v_lshrrev_b32_e32 v17, 2, v17
	v_cmp_eq_u32_e64 s0, 3, v23
	v_lshrrev_b32_e32 v26, v22, v25
	s_wait_alu 0xfffd
	v_cndmask_b32_e32 v18, v20, v5, vcc_lo
	v_add_nc_u32_e32 v5, 0xa00, v61
	v_cmp_lt_i32_e32 vcc_lo, 5, v23
	v_lshlrev_b32_e32 v22, v22, v26
	v_lshrrev_b32_e32 v20, 16, v6
	ds_load_2addr_b32 v[5:6], v5 offset0:32 offset1:144
	s_or_b32 vcc_lo, s0, vcc_lo
	s_wait_alu 0xfffe
	v_add_co_ci_u32_e32 v17, vcc_lo, 0, v17, vcc_lo
	v_cmp_ne_u32_e32 vcc_lo, v22, v25
	v_and_or_b32 v20, 0x8000, v20, v18
	v_lshl_or_b32 v22, v15, 12, v9
	s_wait_alu 0xfffd
	v_cndmask_b32_e64 v18, 0, 1, vcc_lo
	v_cmp_gt_i32_e32 vcc_lo, 31, v21
	v_and_or_b32 v7, 0x1ff, v8, v7
	v_mul_f64_e32 v[13:14], s[8:9], v[13:14]
	v_bfe_u32 v25, v8, 20, 11
	v_or_b32_e32 v18, v26, v18
	s_wait_alu 0xfffd
	v_cndmask_b32_e32 v17, 0x7c00, v17, vcc_lo
	v_cmp_ne_u32_e32 vcc_lo, 0, v11
	v_lshl_or_b32 v27, v20, 16, v19
	s_wait_dscnt 0x0
	v_lshrrev_b32_e32 v23, 16, v5
	s_wait_alu 0xfffd
	v_cndmask_b32_e64 v11, 0, 1, vcc_lo
	v_cmp_gt_i32_e32 vcc_lo, 1, v15
	s_delay_alu instid0(VALU_DEP_3) | instskip(NEXT) | instid1(VALU_DEP_3)
	v_mul_f16_e32 v24, v66, v23
	v_lshl_or_b32 v11, v11, 9, 0x7c00
	s_wait_alu 0xfffd
	v_cndmask_b32_e32 v18, v22, v18, vcc_lo
	v_cmp_ne_u32_e32 vcc_lo, 0, v7
	v_lshrrev_b32_e32 v22, 8, v8
	v_fmac_f16_e32 v24, v60, v5
	v_mul_f16_e32 v5, v66, v5
	v_and_b32_e32 v26, 7, v18
	s_wait_alu 0xfffd
	v_cndmask_b32_e64 v7, 0, 1, vcc_lo
	v_cmp_eq_u32_e32 vcc_lo, 0x40f, v21
	v_lshrrev_b32_e32 v8, 16, v8
	v_fma_f16 v5, v60, v23, -v5
	v_cmp_eq_u32_e64 s0, 3, v26
	v_and_or_b32 v7, 0xffe, v22, v7
	v_sub_nc_u32_e32 v22, 0x3f1, v25
	s_wait_alu 0xfffd
	v_cndmask_b32_e32 v11, v17, v11, vcc_lo
	v_cvt_f32_f16_e32 v17, v24
	v_cmp_lt_i32_e32 vcc_lo, 5, v26
	v_or_b32_e32 v21, 0x1000, v7
	v_med3_i32 v22, v22, 0, 13
	v_lshrrev_b32_e32 v24, 2, v18
	v_cvt_f64_f32_e32 v[17:18], v17
	s_or_b32 vcc_lo, s0, vcc_lo
	v_and_or_b32 v20, 0x8000, v12, v11
	v_lshrrev_b32_e32 v26, v22, v21
	s_wait_alu 0xfffe
	v_add_co_ci_u32_e32 v24, vcc_lo, 0, v24, vcc_lo
	v_cmp_gt_i32_e32 vcc_lo, 31, v15
	v_and_or_b32 v12, 0x1ff, v14, v13
	v_lshlrev_b32_e32 v19, v22, v26
	v_cvt_f32_f16_e32 v5, v5
	s_wait_alu 0xfffd
	v_cndmask_b32_e32 v22, 0x7c00, v24, vcc_lo
	v_lshrrev_b32_e32 v24, 8, v14
	v_cmp_ne_u32_e32 vcc_lo, v19, v21
	v_add_nc_u32_e32 v21, 0xfffffc10, v25
	v_bfe_u32 v25, v14, 20, 11
	v_lshrrev_b32_e32 v14, 16, v14
	s_wait_alu 0xfffd
	v_cndmask_b32_e64 v11, 0, 1, vcc_lo
	v_cmp_ne_u32_e32 vcc_lo, 0, v9
	v_lshl_or_b32 v19, v21, 12, v7
	s_delay_alu instid0(VALU_DEP_3)
	v_or_b32_e32 v13, v26, v11
	s_wait_alu 0xfffd
	v_cndmask_b32_e64 v9, 0, 1, vcc_lo
	v_cmp_ne_u32_e32 vcc_lo, 0, v12
	v_cvt_f64_f32_e32 v[11:12], v5
	v_lshrrev_b32_e32 v26, 16, v16
	s_delay_alu instid0(VALU_DEP_4) | instskip(SKIP_4) | instid1(VALU_DEP_3)
	v_lshl_or_b32 v5, v9, 9, 0x7c00
	s_wait_alu 0xfffd
	v_cndmask_b32_e64 v23, 0, 1, vcc_lo
	v_cmp_gt_i32_e32 vcc_lo, 1, v21
	v_sub_nc_u32_e32 v9, 0x3f1, v25
	v_and_or_b32 v23, 0xffe, v24, v23
	s_wait_alu 0xfffd
	v_cndmask_b32_e32 v13, v19, v13, vcc_lo
	v_cmp_eq_u32_e32 vcc_lo, 0x40f, v15
	v_lshrrev_b32_e32 v15, 16, v10
	v_med3_i32 v24, v9, 0, 13
	v_mul_f64_e32 v[9:10], s[8:9], v[17:18]
	v_and_b32_e32 v19, 7, v13
	s_wait_alu 0xfffd
	v_cndmask_b32_e32 v5, v22, v5, vcc_lo
	v_or_b32_e32 v22, 0x1000, v23
	v_add_co_u32 v1, vcc_lo, v1, s6
	s_wait_alu 0xfffd
	v_add_co_ci_u32_e32 v2, vcc_lo, s7, v2, vcc_lo
	v_and_or_b32 v5, 0x8000, v15, v5
	v_and_b32_e32 v15, 0xffff, v20
	v_lshrrev_b32_e32 v17, v24, v22
	v_cmp_lt_i32_e32 vcc_lo, 5, v19
	v_cmp_eq_u32_e64 s0, 3, v19
	v_lshrrev_b32_e32 v13, 2, v13
	v_lshl_or_b32 v5, v5, 16, v15
	v_lshlrev_b32_e32 v15, v24, v17
	v_mul_f16_e32 v18, v64, v26
	s_or_b32 vcc_lo, s0, vcc_lo
	s_wait_alu 0xfffe
	v_add_co_ci_u32_e32 v13, vcc_lo, 0, v13, vcc_lo
	v_cmp_ne_u32_e32 vcc_lo, v15, v22
	v_add_nc_u32_e32 v22, 0xfffffc10, v25
	v_fmac_f16_e32 v18, v58, v16
	v_mul_f64_e32 v[11:12], s[8:9], v[11:12]
	s_wait_alu 0xfffd
	v_cndmask_b32_e64 v15, 0, 1, vcc_lo
	v_cmp_ne_u32_e32 vcc_lo, 0, v7
	v_cvt_f32_f16_e32 v18, v18
	s_delay_alu instid0(VALU_DEP_3) | instskip(SKIP_4) | instid1(VALU_DEP_3)
	v_or_b32_e32 v15, v17, v15
	s_wait_alu 0xfffd
	v_cndmask_b32_e64 v7, 0, 1, vcc_lo
	v_cmp_gt_i32_e32 vcc_lo, 31, v21
	v_lshl_or_b32 v17, v22, 12, v23
	v_lshl_or_b32 v7, v7, 9, 0x7c00
	s_wait_alu 0xfffd
	v_cndmask_b32_e32 v13, 0x7c00, v13, vcc_lo
	v_cmp_gt_i32_e32 vcc_lo, 1, v22
	v_and_or_b32 v9, 0x1ff, v10, v9
	s_wait_alu 0xfffd
	v_cndmask_b32_e32 v15, v17, v15, vcc_lo
	v_cvt_f64_f32_e32 v[17:18], v18
	v_add_co_u32 v19, vcc_lo, v1, s2
	s_wait_alu 0xfffd
	v_add_co_ci_u32_e32 v20, vcc_lo, s3, v2, vcc_lo
	v_cmp_eq_u32_e32 vcc_lo, 0x40f, v21
	v_and_b32_e32 v24, 7, v15
	v_cmp_ne_u32_e64 s0, 0, v9
	v_bfe_u32 v21, v10, 20, 11
	global_store_b32 v[1:2], v27, off
	global_store_b32 v[19:20], v5, off
	s_wait_alu 0xfffd
	v_cndmask_b32_e32 v7, v13, v7, vcc_lo
	v_cmp_lt_i32_e32 vcc_lo, 5, v24
	s_wait_alu 0xf1ff
	v_cndmask_b32_e64 v9, 0, 1, s0
	v_cmp_eq_u32_e64 s0, 3, v24
	v_lshrrev_b32_e32 v13, 8, v10
	v_and_or_b32 v24, 0x8000, v8, v7
	v_lshrrev_b32_e32 v7, 2, v15
	v_sub_nc_u32_e32 v8, 0x3f1, v21
	s_or_b32 vcc_lo, s0, vcc_lo
	v_and_or_b32 v9, 0xffe, v13, v9
	v_mul_f16_e32 v15, v64, v16
	s_wait_alu 0xfffe
	v_add_co_ci_u32_e32 v7, vcc_lo, 0, v7, vcc_lo
	v_cmp_ne_u32_e32 vcc_lo, 0, v23
	v_or_b32_e32 v23, 0x1000, v9
	v_med3_i32 v8, v8, 0, 13
	v_and_or_b32 v11, 0x1ff, v12, v11
	v_fma_f16 v15, v58, v26, -v15
	s_wait_alu 0xfffd
	v_cndmask_b32_e64 v13, 0, 1, vcc_lo
	v_cmp_gt_i32_e32 vcc_lo, 31, v22
	v_lshrrev_b32_e32 v25, v8, v23
	v_lshrrev_b32_e32 v26, 8, v12
	v_cvt_f32_f16_e32 v15, v15
	v_lshl_or_b32 v13, v13, 9, 0x7c00
	s_wait_alu 0xfffd
	v_cndmask_b32_e32 v7, 0x7c00, v7, vcc_lo
	v_cmp_eq_u32_e32 vcc_lo, 0x40f, v22
	v_lshlrev_b32_e32 v22, v8, v25
	v_cvt_f64_f32_e32 v[15:16], v15
	v_add_nc_u32_e32 v21, 0xfffffc10, v21
	s_wait_alu 0xfffd
	v_cndmask_b32_e32 v13, v7, v13, vcc_lo
	v_cmp_ne_u32_e32 vcc_lo, 0, v11
	v_mul_f64_e32 v[7:8], s[8:9], v[17:18]
	v_bfe_u32 v17, v12, 20, 11
	v_lshrrev_b32_e32 v12, 16, v12
	v_and_or_b32 v13, 0x8000, v14, v13
	s_wait_alu 0xfffd
	v_cndmask_b32_e64 v11, 0, 1, vcc_lo
	v_cmp_ne_u32_e32 vcc_lo, v22, v23
	v_sub_nc_u32_e32 v22, 0x3f1, v17
	v_lshl_or_b32 v23, v21, 12, v9
	v_and_b32_e32 v14, 0xffff, v24
	v_and_or_b32 v11, 0xffe, v26, v11
	s_wait_alu 0xfffd
	v_cndmask_b32_e64 v18, 0, 1, vcc_lo
	v_med3_i32 v22, v22, 0, 13
	v_cmp_gt_i32_e32 vcc_lo, 1, v21
	v_lshl_or_b32 v24, v13, 16, v14
	v_add_nc_u32_e32 v17, 0xfffffc10, v17
	v_or_b32_e32 v18, v25, v18
	v_or_b32_e32 v25, 0x1000, v11
	s_wait_alu 0xfffd
	s_delay_alu instid0(VALU_DEP_2) | instskip(NEXT) | instid1(VALU_DEP_2)
	v_cndmask_b32_e32 v18, v23, v18, vcc_lo
	v_lshrrev_b32_e32 v23, v22, v25
	v_add_co_u32 v1, vcc_lo, v19, s6
	s_wait_alu 0xfffd
	v_add_co_ci_u32_e32 v2, vcc_lo, s7, v20, vcc_lo
	s_delay_alu instid0(VALU_DEP_3) | instskip(SKIP_3) | instid1(VALU_DEP_4)
	v_lshlrev_b32_e32 v13, v22, v23
	v_and_b32_e32 v5, 7, v18
	v_lshl_or_b32 v19, v17, 12, v11
	v_lshrrev_b32_e32 v20, 16, v6
	v_cmp_ne_u32_e64 s1, v13, v25
	s_delay_alu instid0(VALU_DEP_4) | instskip(SKIP_4) | instid1(VALU_DEP_3)
	v_cmp_lt_i32_e32 vcc_lo, 5, v5
	v_cmp_eq_u32_e64 s0, 3, v5
	v_lshrrev_b32_e32 v5, 2, v18
	s_wait_alu 0xf1ff
	v_cndmask_b32_e64 v13, 0, 1, s1
	s_or_b32 vcc_lo, s0, vcc_lo
	v_and_or_b32 v7, 0x1ff, v8, v7
	s_wait_alu 0xfffe
	v_add_co_ci_u32_e32 v5, vcc_lo, 0, v5, vcc_lo
	v_or_b32_e32 v18, v23, v13
	v_cmp_gt_i32_e32 vcc_lo, 1, v17
	v_mul_f64_e32 v[13:14], s[8:9], v[15:16]
	v_lshrrev_b32_e32 v15, 8, v8
	v_mul_f16_e32 v16, v62, v20
	s_wait_alu 0xfffd
	v_cndmask_b32_e32 v18, v19, v18, vcc_lo
	v_cmp_ne_u32_e32 vcc_lo, 0, v7
	v_bfe_u32 v19, v8, 20, 11
	v_fmac_f16_e32 v16, v56, v6
	v_mul_f16_e32 v6, v62, v6
	v_and_b32_e32 v22, 7, v18
	s_wait_alu 0xfffd
	v_cndmask_b32_e64 v7, 0, 1, vcc_lo
	v_cmp_gt_i32_e32 vcc_lo, 31, v21
	v_lshrrev_b32_e32 v18, 2, v18
	v_cvt_f32_f16_e32 v16, v16
	v_cmp_eq_u32_e64 s0, 3, v22
	v_and_or_b32 v7, 0xffe, v15, v7
	s_wait_alu 0xfffd
	v_cndmask_b32_e32 v5, 0x7c00, v5, vcc_lo
	v_cmp_ne_u32_e32 vcc_lo, 0, v9
	v_sub_nc_u32_e32 v15, 0x3f1, v19
	v_fma_f16 v6, v56, v20, -v6
	v_or_b32_e32 v23, 0x1000, v7
	v_add_nc_u32_e32 v19, 0xfffffc10, v19
	s_wait_alu 0xfffd
	v_cndmask_b32_e64 v9, 0, 1, vcc_lo
	v_cmp_lt_i32_e32 vcc_lo, 5, v22
	v_med3_i32 v25, v15, 0, 13
	v_cvt_f64_f32_e32 v[15:16], v16
	s_delay_alu instid0(VALU_DEP_4) | instskip(SKIP_1) | instid1(VALU_DEP_3)
	v_lshl_or_b32 v9, v9, 9, 0x7c00
	s_or_b32 vcc_lo, s0, vcc_lo
	v_lshrrev_b32_e32 v22, v25, v23
	s_wait_alu 0xfffe
	v_add_co_ci_u32_e32 v18, vcc_lo, 0, v18, vcc_lo
	v_cmp_eq_u32_e32 vcc_lo, 0x40f, v21
	s_wait_alu 0xfffd
	v_cndmask_b32_e32 v21, v5, v9, vcc_lo
	v_lshlrev_b32_e32 v5, v25, v22
	v_cmp_gt_i32_e32 vcc_lo, 31, v17
	v_and_or_b32 v9, 0x1ff, v14, v13
	v_lshrrev_b32_e32 v25, 16, v10
	v_lshl_or_b32 v13, v19, 12, v7
	v_lshrrev_b32_e32 v20, 8, v14
	s_wait_alu 0xfffd
	v_cndmask_b32_e32 v18, 0x7c00, v18, vcc_lo
	v_cmp_ne_u32_e32 vcc_lo, v5, v23
	v_add_nc_u32_e32 v23, 0x1c00, v61
	s_wait_alu 0xfffd
	v_cndmask_b32_e64 v5, 0, 1, vcc_lo
	v_cmp_ne_u32_e32 vcc_lo, 0, v11
	s_delay_alu instid0(VALU_DEP_2)
	v_or_b32_e32 v11, v22, v5
	s_wait_alu 0xfffd
	v_cndmask_b32_e64 v10, 0, 1, vcc_lo
	v_cvt_f32_f16_e32 v5, v6
	v_cmp_ne_u32_e32 vcc_lo, 0, v9
	v_bfe_u32 v22, v14, 20, 11
	s_delay_alu instid0(VALU_DEP_3)
	v_cvt_f64_f32_e32 v[5:6], v5
	s_wait_alu 0xfffd
	v_cndmask_b32_e64 v9, 0, 1, vcc_lo
	v_cmp_gt_i32_e32 vcc_lo, 1, v19
	s_wait_alu 0xfffd
	v_cndmask_b32_e32 v11, v13, v11, vcc_lo
	s_delay_alu instid0(VALU_DEP_3)
	v_and_or_b32 v13, 0xffe, v20, v9
	v_sub_nc_u32_e32 v9, 0x3f1, v22
	v_lshl_or_b32 v20, v10, 9, 0x7c00
	v_cmp_eq_u32_e32 vcc_lo, 0x40f, v17
	v_and_b32_e32 v26, 7, v11
	v_or_b32_e32 v27, 0x1000, v13
	v_med3_i32 v28, v9, 0, 13
	v_mul_f64_e32 v[9:10], s[8:9], v[15:16]
	s_wait_alu 0xfffd
	v_cndmask_b32_e32 v17, v18, v20, vcc_lo
	v_cmp_lt_i32_e32 vcc_lo, 5, v26
	v_cmp_eq_u32_e64 s0, 3, v26
	v_lshrrev_b32_e32 v20, v28, v27
	ds_load_2addr_b32 v[15:16], v23 offset1:112
	v_lshrrev_b32_e32 v11, 2, v11
	v_and_or_b32 v12, 0x8000, v12, v17
	s_or_b32 vcc_lo, s0, vcc_lo
	v_lshlrev_b32_e32 v17, v28, v20
	v_and_or_b32 v18, 0x8000, v25, v21
	s_wait_alu 0xfffe
	v_add_co_ci_u32_e32 v11, vcc_lo, 0, v11, vcc_lo
	v_add_nc_u32_e32 v21, 0xfffffc10, v22
	v_cmp_ne_u32_e32 vcc_lo, v17, v27
	v_and_b32_e32 v18, 0xffff, v18
	s_wait_alu 0xfffd
	v_cndmask_b32_e64 v17, 0, 1, vcc_lo
	v_cmp_gt_i32_e32 vcc_lo, 31, v19
	v_mul_f64_e32 v[5:6], s[8:9], v[5:6]
	s_delay_alu instid0(VALU_DEP_3)
	v_or_b32_e32 v17, v20, v17
	s_wait_alu 0xfffd
	v_cndmask_b32_e32 v11, 0x7c00, v11, vcc_lo
	v_cmp_ne_u32_e32 vcc_lo, 0, v7
	s_wait_dscnt 0x0
	v_lshrrev_b32_e32 v22, 16, v15
	v_lshl_or_b32 v20, v21, 12, v13
	s_wait_alu 0xfffd
	v_cndmask_b32_e64 v7, 0, 1, vcc_lo
	v_cmp_gt_i32_e32 vcc_lo, 1, v21
	v_mul_f16_e32 v23, v59, v22
	s_delay_alu instid0(VALU_DEP_3) | instskip(SKIP_2) | instid1(VALU_DEP_3)
	v_lshl_or_b32 v7, v7, 9, 0x7c00
	s_wait_alu 0xfffd
	v_cndmask_b32_e32 v17, v20, v17, vcc_lo
	v_fmac_f16_e32 v23, v54, v15
	v_cmp_eq_u32_e32 vcc_lo, 0x40f, v19
	v_lshl_or_b32 v20, v12, 16, v18
	v_and_or_b32 v9, 0x1ff, v10, v9
	v_and_b32_e32 v12, 7, v17
	v_lshrrev_b32_e32 v18, 16, v8
	s_wait_alu 0xfffd
	v_cndmask_b32_e32 v11, v11, v7, vcc_lo
	v_cvt_f32_f16_e32 v7, v23
	v_cmp_ne_u32_e64 s1, 0, v9
	v_cmp_lt_i32_e32 vcc_lo, 5, v12
	v_cmp_eq_u32_e64 s0, 3, v12
	v_lshrrev_b32_e32 v12, 2, v17
	v_cvt_f64_f32_e32 v[7:8], v7
	s_wait_alu 0xf1ff
	v_cndmask_b32_e64 v9, 0, 1, s1
	v_lshrrev_b32_e32 v17, 8, v10
	s_or_b32 vcc_lo, s0, vcc_lo
	v_bfe_u32 v19, v10, 20, 11
	s_wait_alu 0xfffe
	v_add_co_ci_u32_e32 v12, vcc_lo, 0, v12, vcc_lo
	v_cmp_ne_u32_e32 vcc_lo, 0, v13
	v_and_or_b32 v9, 0xffe, v17, v9
	v_sub_nc_u32_e32 v17, 0x3f1, v19
	v_mul_f16_e32 v15, v59, v15
	v_and_or_b32 v5, 0x1ff, v6, v5
	s_wait_alu 0xfffd
	v_cndmask_b32_e64 v13, 0, 1, vcc_lo
	v_cmp_gt_i32_e32 vcc_lo, 31, v21
	v_or_b32_e32 v23, 0x1000, v9
	v_med3_i32 v17, v17, 0, 13
	v_fma_f16 v15, v54, v22, -v15
	v_lshl_or_b32 v13, v13, 9, 0x7c00
	s_wait_alu 0xfffd
	v_cndmask_b32_e32 v12, 0x7c00, v12, vcc_lo
	v_cmp_eq_u32_e32 vcc_lo, 0x40f, v21
	v_and_or_b32 v11, 0x8000, v18, v11
	v_cvt_f32_f16_e32 v15, v15
	v_bfe_u32 v22, v6, 20, 11
	s_wait_alu 0xfffd
	v_dual_cndmask_b32 v12, v12, v13 :: v_dual_add_nc_u32 v19, 0xfffffc10, v19
	v_lshrrev_b32_e32 v13, 16, v14
	v_lshrrev_b32_e32 v14, v17, v23
	v_cmp_ne_u32_e32 vcc_lo, 0, v5
	v_and_b32_e32 v21, 0xffff, v11
	v_lshrrev_b32_e32 v10, 16, v10
	v_and_or_b32 v18, 0x8000, v13, v12
	v_lshlrev_b32_e32 v13, v17, v14
	v_cvt_f64_f32_e32 v[11:12], v15
	s_wait_alu 0xfffd
	v_cndmask_b32_e64 v5, 0, 1, vcc_lo
	v_lshrrev_b32_e32 v15, 8, v6
	v_lshl_or_b32 v21, v18, 16, v21
	v_cmp_ne_u32_e32 vcc_lo, v13, v23
	v_lshl_or_b32 v23, v19, 12, v9
	v_mul_f64_e32 v[7:8], s[8:9], v[7:8]
	v_and_or_b32 v5, 0xffe, v15, v5
	v_sub_nc_u32_e32 v15, 0x3f1, v22
	s_wait_alu 0xfffd
	v_cndmask_b32_e64 v13, 0, 1, vcc_lo
	s_delay_alu instid0(VALU_DEP_3) | instskip(NEXT) | instid1(VALU_DEP_3)
	v_or_b32_e32 v25, 0x1000, v5
	v_med3_i32 v15, v15, 0, 13
	s_delay_alu instid0(VALU_DEP_3)
	v_or_b32_e32 v17, v14, v13
	v_add_co_u32 v13, vcc_lo, v1, s2
	s_wait_alu 0xfffd
	v_add_co_ci_u32_e32 v14, vcc_lo, s3, v2, vcc_lo
	v_cmp_gt_i32_e32 vcc_lo, 1, v19
	v_lshrrev_b32_e32 v26, v15, v25
	s_wait_alu 0xfffd
	v_cndmask_b32_e32 v23, v23, v17, vcc_lo
	s_delay_alu instid0(VALU_DEP_2)
	v_lshlrev_b32_e32 v15, v15, v26
	v_add_co_u32 v17, vcc_lo, v13, s6
	s_wait_alu 0xfffd
	v_add_co_ci_u32_e32 v18, vcc_lo, s7, v14, vcc_lo
	v_and_b32_e32 v27, 7, v23
	v_cmp_ne_u32_e64 s0, v15, v25
	global_store_b32 v[1:2], v24, off
	global_store_b32 v[13:14], v20, off
	;; [unrolled: 1-line block ×3, first 2 shown]
	v_lshrrev_b32_e32 v15, 2, v23
	v_add_nc_u32_e32 v14, 0xfffffc10, v22
	v_cmp_lt_i32_e32 vcc_lo, 5, v27
	s_wait_alu 0xf1ff
	v_cndmask_b32_e64 v13, 0, 1, s0
	v_cmp_eq_u32_e64 s0, 3, v27
	v_mul_f64_e32 v[1:2], s[8:9], v[11:12]
	v_lshl_or_b32 v12, v14, 12, v5
	s_delay_alu instid0(VALU_DEP_4) | instskip(NEXT) | instid1(VALU_DEP_4)
	v_or_b32_e32 v11, v26, v13
	s_or_b32 vcc_lo, s0, vcc_lo
	s_wait_alu 0xfffe
	v_add_co_ci_u32_e32 v13, vcc_lo, 0, v15, vcc_lo
	v_cmp_ne_u32_e32 vcc_lo, 0, v9
	v_and_or_b32 v7, 0x1ff, v8, v7
	v_lshrrev_b32_e32 v15, 16, v0
	v_lshrrev_b32_e32 v21, 8, v8
	v_bfe_u32 v22, v8, 20, 11
	s_wait_alu 0xfffd
	v_cndmask_b32_e64 v9, 0, 1, vcc_lo
	v_cmp_gt_i32_e32 vcc_lo, 1, v14
	v_mul_f16_e32 v20, v57, v15
	s_delay_alu instid0(VALU_DEP_3)
	v_lshl_or_b32 v9, v9, 9, 0x7c00
	s_wait_alu 0xfffd
	v_cndmask_b32_e32 v11, v12, v11, vcc_lo
	v_cmp_gt_i32_e32 vcc_lo, 31, v19
	v_fmac_f16_e32 v20, v53, v0
	v_mul_f16_e32 v0, v57, v0
	s_wait_alu 0xfffd
	v_cndmask_b32_e32 v12, 0x7c00, v13, vcc_lo
	v_cmp_ne_u32_e32 vcc_lo, 0, v7
	v_and_b32_e32 v13, 7, v11
	v_fma_f16 v0, v53, v15, -v0
	s_wait_alu 0xfffd
	v_cndmask_b32_e64 v7, 0, 1, vcc_lo
	v_cmp_eq_u32_e32 vcc_lo, 0x40f, v19
	v_cmp_eq_u32_e64 s0, 3, v13
	v_cvt_f32_f16_e32 v19, v20
	v_cvt_f32_f16_e32 v0, v0
	v_and_or_b32 v7, 0xffe, v21, v7
	s_wait_alu 0xfffd
	v_cndmask_b32_e32 v9, v12, v9, vcc_lo
	v_sub_nc_u32_e32 v12, 0x3f1, v22
	v_cmp_lt_i32_e32 vcc_lo, 5, v13
	v_lshrrev_b32_e32 v13, 2, v11
	v_or_b32_e32 v20, 0x1000, v7
	v_and_or_b32 v1, 0x1ff, v2, v1
	v_med3_i32 v21, v12, 0, 13
	s_or_b32 vcc_lo, s0, vcc_lo
	v_cvt_f64_f32_e32 v[11:12], v19
	s_wait_alu 0xfffe
	v_add_co_ci_u32_e32 v13, vcc_lo, 0, v13, vcc_lo
	v_lshrrev_b32_e32 v19, v21, v20
	v_cmp_ne_u32_e32 vcc_lo, 0, v5
	v_lshrrev_b32_e32 v23, 8, v2
	v_bfe_u32 v15, v2, 20, 11
	v_and_or_b32 v9, 0x8000, v10, v9
	v_lshlrev_b32_e32 v21, v21, v19
	s_wait_alu 0xfffd
	v_cndmask_b32_e64 v5, 0, 1, vcc_lo
	v_cmp_ne_u32_e32 vcc_lo, 0, v1
	v_lshrrev_b32_e32 v2, 16, v2
	v_and_b32_e32 v9, 0xffff, v9
	s_delay_alu instid0(VALU_DEP_4) | instskip(SKIP_4) | instid1(VALU_DEP_3)
	v_lshl_or_b32 v5, v5, 9, 0x7c00
	s_wait_alu 0xfffd
	v_cndmask_b32_e64 v1, 0, 1, vcc_lo
	v_cmp_ne_u32_e32 vcc_lo, v21, v20
	v_add_nc_u32_e32 v21, 0xfffffc10, v22
	v_and_or_b32 v22, 0xffe, v23, v1
	s_wait_alu 0xfffd
	v_cndmask_b32_e64 v20, 0, 1, vcc_lo
	v_sub_nc_u32_e32 v23, 0x3f1, v15
	v_cmp_gt_i32_e32 vcc_lo, 31, v14
	v_cvt_f64_f32_e32 v[0:1], v0
	v_or_b32_e32 v24, 0x1000, v22
	v_or_b32_e32 v19, v19, v20
	v_lshl_or_b32 v20, v21, 12, v7
	v_med3_i32 v23, v23, 0, 13
	s_wait_alu 0xfffd
	v_cndmask_b32_e32 v13, 0x7c00, v13, vcc_lo
	v_cmp_gt_i32_e32 vcc_lo, 1, v21
	v_add_nc_u32_e32 v15, 0xfffffc10, v15
	s_wait_alu 0xfffd
	v_cndmask_b32_e32 v19, v20, v19, vcc_lo
	v_lshrrev_b32_e32 v20, v23, v24
	v_cmp_eq_u32_e32 vcc_lo, 0x40f, v14
	v_lshrrev_b32_e32 v14, 16, v6
	s_delay_alu instid0(VALU_DEP_4) | instskip(NEXT) | instid1(VALU_DEP_4)
	v_and_b32_e32 v25, 7, v19
	v_lshlrev_b32_e32 v23, v23, v20
	s_wait_alu 0xfffd
	v_cndmask_b32_e32 v13, v13, v5, vcc_lo
	v_mul_f64_e32 v[5:6], s[8:9], v[11:12]
	v_lshrrev_b32_e32 v12, 2, v19
	v_cmp_lt_i32_e32 vcc_lo, 5, v25
	v_cmp_ne_u32_e64 s0, v23, v24
	v_and_or_b32 v10, 0x8000, v14, v13
	v_lshl_or_b32 v13, v15, 12, v22
	v_lshrrev_b32_e32 v14, 16, v16
	s_wait_alu 0xf1ff
	v_cndmask_b32_e64 v11, 0, 1, s0
	v_cmp_eq_u32_e64 s0, 3, v25
	v_lshl_or_b32 v19, v10, 16, v9
	s_delay_alu instid0(VALU_DEP_3) | instskip(NEXT) | instid1(VALU_DEP_3)
	v_or_b32_e32 v11, v20, v11
	s_or_b32 vcc_lo, s0, vcc_lo
	s_wait_alu 0xfffe
	v_add_co_ci_u32_e32 v12, vcc_lo, 0, v12, vcc_lo
	v_cmp_ne_u32_e32 vcc_lo, 0, v7
	v_mul_f64_e32 v[0:1], s[8:9], v[0:1]
	s_wait_alu 0xfffd
	v_cndmask_b32_e64 v7, 0, 1, vcc_lo
	v_cmp_gt_i32_e32 vcc_lo, 1, v15
	s_delay_alu instid0(VALU_DEP_2) | instskip(SKIP_4) | instid1(VALU_DEP_2)
	v_lshl_or_b32 v7, v7, 9, 0x7c00
	s_wait_alu 0xfffd
	v_cndmask_b32_e32 v11, v13, v11, vcc_lo
	v_cmp_gt_i32_e32 vcc_lo, 31, v21
	s_wait_alu 0xfffd
	v_dual_cndmask_b32 v12, 0x7c00, v12 :: v_dual_and_b32 v13, 7, v11
	v_add_co_u32 v9, vcc_lo, v17, s2
	s_wait_alu 0xfffd
	v_add_co_ci_u32_e32 v10, vcc_lo, s3, v18, vcc_lo
	v_cmp_eq_u32_e32 vcc_lo, 0x40f, v21
	v_cmp_eq_u32_e64 s0, 3, v13
	v_lshrrev_b32_e32 v18, 16, v8
	v_lshrrev_b32_e32 v8, 2, v11
	v_and_or_b32 v5, 0x1ff, v6, v5
	s_wait_alu 0xfffd
	v_cndmask_b32_e32 v17, v12, v7, vcc_lo
	v_cmp_lt_i32_e32 vcc_lo, 5, v13
	v_mul_f16_e32 v7, v55, v14
	v_lshrrev_b32_e32 v12, 8, v6
	v_bfe_u32 v20, v6, 20, 11
	v_mul_f16_e32 v13, v55, v16
	s_or_b32 vcc_lo, s0, vcc_lo
	v_fmac_f16_e32 v7, v52, v16
	s_wait_alu 0xfffe
	v_add_co_ci_u32_e32 v11, vcc_lo, 0, v8, vcc_lo
	v_cmp_ne_u32_e32 vcc_lo, 0, v5
	v_and_or_b32 v17, 0x8000, v18, v17
	v_cvt_f32_f16_e32 v7, v7
	v_and_or_b32 v24, 0x1ff, v1, v0
	s_wait_alu 0xfffd
	v_cndmask_b32_e64 v5, 0, 1, vcc_lo
	v_cmp_ne_u32_e32 vcc_lo, 0, v22
	v_cvt_f64_f32_e32 v[7:8], v7
	v_and_b32_e32 v17, 0xffff, v17
	s_delay_alu instid0(VALU_DEP_4)
	v_and_or_b32 v5, 0xffe, v12, v5
	v_fma_f16 v12, v52, v14, -v13
	v_sub_nc_u32_e32 v13, 0x3f1, v20
	s_wait_alu 0xfffd
	v_cndmask_b32_e64 v16, 0, 1, vcc_lo
	v_cmp_gt_i32_e32 vcc_lo, 31, v15
	v_or_b32_e32 v22, 0x1000, v5
	v_cvt_f32_f16_e32 v14, v12
	v_med3_i32 v23, v13, 0, 13
	v_lshl_or_b32 v16, v16, 9, 0x7c00
	s_wait_alu 0xfffd
	v_cndmask_b32_e32 v21, 0x7c00, v11, vcc_lo
	v_mad_co_u64_u32 v[11:12], null, s4, v51, 0
	v_lshrrev_b32_e32 v18, v23, v22
	v_cmp_eq_u32_e32 vcc_lo, 0x40f, v15
	v_cvt_f64_f32_e32 v[13:14], v14
	v_add_nc_u32_e32 v20, 0xfffffc10, v20
	s_wait_alu 0xfffd
	v_dual_cndmask_b32 v21, v21, v16 :: v_dual_mov_b32 v0, v12
	v_lshlrev_b32_e32 v12, v23, v18
	v_cmp_ne_u32_e32 vcc_lo, 0, v24
	v_lshrrev_b32_e32 v16, 8, v1
	v_bfe_u32 v23, v1, 20, 11
	v_and_or_b32 v2, 0x8000, v2, v21
	s_wait_alu 0xfffd
	v_cndmask_b32_e64 v15, 0, 1, vcc_lo
	v_cmp_ne_u32_e32 vcc_lo, v12, v22
	v_sub_nc_u32_e32 v24, 0x3f1, v23
	v_lshl_or_b32 v17, v2, 16, v17
	s_delay_alu instid0(VALU_DEP_4)
	v_and_or_b32 v22, 0xffe, v16, v15
	s_wait_alu 0xfffd
	v_cndmask_b32_e64 v12, 0, 1, vcc_lo
	v_mad_co_u64_u32 v[15:16], null, s5, v51, v[0:1]
	v_cmp_gt_i32_e32 vcc_lo, 1, v20
	v_or_b32_e32 v16, 0x1000, v22
	s_delay_alu instid0(VALU_DEP_4)
	v_or_b32_e32 v0, v18, v12
	v_lshl_or_b32 v12, v20, 12, v5
	v_med3_i32 v18, v24, 0, 13
	v_mul_f64_e32 v[7:8], s[8:9], v[7:8]
	v_lshrrev_b32_e32 v1, 16, v1
	s_wait_alu 0xfffd
	v_cndmask_b32_e32 v0, v12, v0, vcc_lo
	v_mov_b32_e32 v12, v15
	v_lshrrev_b32_e32 v15, v18, v16
	s_delay_alu instid0(VALU_DEP_3) | instskip(SKIP_1) | instid1(VALU_DEP_3)
	v_and_b32_e32 v21, 7, v0
	v_lshrrev_b32_e32 v0, 2, v0
	v_lshlrev_b32_e32 v2, v18, v15
	v_lshlrev_b64_e32 v[11:12], 2, v[11:12]
	v_mul_f64_e32 v[13:14], s[8:9], v[13:14]
	v_cmp_lt_i32_e32 vcc_lo, 5, v21
	v_cmp_eq_u32_e64 s0, 3, v21
	v_cmp_ne_u32_e64 s1, v2, v16
	v_add_nc_u32_e32 v16, 0xfffffc10, v23
	s_delay_alu instid0(VALU_DEP_3) | instskip(NEXT) | instid1(VALU_DEP_2)
	s_or_b32 vcc_lo, s0, vcc_lo
	v_cndmask_b32_e64 v2, 0, 1, s1
	s_wait_alu 0xfffe
	v_add_co_ci_u32_e32 v0, vcc_lo, 0, v0, vcc_lo
	v_cmp_ne_u32_e32 vcc_lo, 0, v5
	s_delay_alu instid0(VALU_DEP_3) | instskip(SKIP_4) | instid1(VALU_DEP_2)
	v_or_b32_e32 v2, v15, v2
	v_lshl_or_b32 v15, v16, 12, v22
	s_wait_alu 0xfffd
	v_cndmask_b32_e64 v5, 0, 1, vcc_lo
	v_cmp_gt_i32_e32 vcc_lo, 31, v20
	v_lshl_or_b32 v5, v5, 9, 0x7c00
	s_wait_alu 0xfffd
	v_cndmask_b32_e32 v0, 0x7c00, v0, vcc_lo
	v_cmp_gt_i32_e32 vcc_lo, 1, v16
	s_wait_alu 0xfffd
	v_cndmask_b32_e32 v2, v15, v2, vcc_lo
	v_add_co_u32 v11, vcc_lo, v3, v11
	s_wait_alu 0xfffd
	v_add_co_ci_u32_e32 v12, vcc_lo, v4, v12, vcc_lo
	v_cmp_eq_u32_e32 vcc_lo, 0x40f, v20
	v_and_b32_e32 v15, 7, v2
	v_lshrrev_b32_e32 v2, 2, v2
	s_wait_alu 0xfffd
	v_cndmask_b32_e32 v0, v0, v5, vcc_lo
	v_and_or_b32 v5, 0x1ff, v8, v7
	v_cmp_lt_i32_e32 vcc_lo, 5, v15
	v_cmp_eq_u32_e64 s0, 3, v15
	v_lshrrev_b32_e32 v7, 16, v6
	v_lshrrev_b32_e32 v6, 8, v8
	v_cmp_ne_u32_e64 s1, 0, v5
	v_bfe_u32 v15, v8, 20, 11
	s_or_b32 vcc_lo, s0, vcc_lo
	v_lshrrev_b32_e32 v21, 8, v14
	s_wait_alu 0xfffe
	v_add_co_ci_u32_e32 v2, vcc_lo, 0, v2, vcc_lo
	v_cndmask_b32_e64 v5, 0, 1, s1
	v_cmp_ne_u32_e32 vcc_lo, 0, v22
	v_bfe_u32 v22, v14, 20, 11
	v_and_or_b32 v7, 0x8000, v7, v0
	v_lshrrev_b32_e32 v8, 16, v8
	v_and_or_b32 v18, 0xffe, v6, v5
	v_and_or_b32 v6, 0x1ff, v14, v13
	v_sub_nc_u32_e32 v5, 0x3f1, v15
	s_wait_alu 0xfffd
	v_cndmask_b32_e64 v13, 0, 1, vcc_lo
	v_add_nc_u32_e32 v15, 0xfffffc10, v15
	v_or_b32_e32 v20, 0x1000, v18
	v_cmp_ne_u32_e32 vcc_lo, 0, v6
	v_med3_i32 v5, v5, 0, 13
	v_lshl_or_b32 v13, v13, 9, 0x7c00
	v_and_b32_e32 v7, 0xffff, v7
	v_cmp_gt_i32_e64 s1, 31, v15
	s_wait_alu 0xfffd
	v_cndmask_b32_e64 v6, 0, 1, vcc_lo
	v_cmp_gt_i32_e32 vcc_lo, 31, v16
	v_lshrrev_b32_e32 v23, v5, v20
	v_lshrrev_b32_e32 v14, 16, v14
	s_delay_alu instid0(VALU_DEP_4)
	v_and_or_b32 v21, 0xffe, v21, v6
	s_wait_alu 0xfffd
	v_cndmask_b32_e32 v2, 0x7c00, v2, vcc_lo
	v_cmp_eq_u32_e32 vcc_lo, 0x40f, v16
	v_sub_nc_u32_e32 v6, 0x3f1, v22
	v_or_b32_e32 v16, 0x1000, v21
	s_wait_alu 0xfffd
	v_dual_cndmask_b32 v2, v2, v13 :: v_dual_lshlrev_b32 v13, v5, v23
	s_delay_alu instid0(VALU_DEP_3) | instskip(SKIP_1) | instid1(VALU_DEP_3)
	v_med3_i32 v24, v6, 0, 13
	v_mad_co_u64_u32 v[5:6], null, s4, v50, 0
	v_and_or_b32 v2, 0x8000, v1, v2
	s_delay_alu instid0(VALU_DEP_4) | instskip(NEXT) | instid1(VALU_DEP_4)
	v_cmp_ne_u32_e32 vcc_lo, v13, v20
	v_lshrrev_b32_e32 v20, v24, v16
	s_delay_alu instid0(VALU_DEP_3) | instskip(SKIP_2) | instid1(VALU_DEP_3)
	v_lshl_or_b32 v7, v2, 16, v7
	s_wait_alu 0xfffd
	v_cndmask_b32_e64 v13, 0, 1, vcc_lo
	v_lshlrev_b32_e32 v24, v24, v20
	v_cmp_gt_i32_e32 vcc_lo, 1, v15
	v_mov_b32_e32 v0, v6
	s_delay_alu instid0(VALU_DEP_4) | instskip(SKIP_1) | instid1(VALU_DEP_3)
	v_or_b32_e32 v13, v23, v13
	v_lshl_or_b32 v23, v15, 12, v18
	v_mad_co_u64_u32 v[0:1], null, s5, v50, v[0:1]
	s_wait_alu 0xfffd
	s_delay_alu instid0(VALU_DEP_2) | instskip(SKIP_2) | instid1(VALU_DEP_3)
	v_cndmask_b32_e32 v13, v23, v13, vcc_lo
	v_cmp_ne_u32_e32 vcc_lo, v24, v16
	v_add_nc_u32_e32 v16, 0xfffffc10, v22
	v_and_b32_e32 v1, 7, v13
	s_wait_alu 0xfffd
	v_cndmask_b32_e64 v6, 0, 1, vcc_lo
	s_delay_alu instid0(VALU_DEP_3) | instskip(NEXT) | instid1(VALU_DEP_3)
	v_cmp_gt_i32_e64 s0, 1, v16
	v_cmp_lt_i32_e32 vcc_lo, 5, v1
	s_delay_alu instid0(VALU_DEP_3) | instskip(SKIP_2) | instid1(VALU_DEP_1)
	v_or_b32_e32 v6, v20, v6
	v_lshl_or_b32 v20, v16, 12, v21
	s_wait_alu 0xf1ff
	v_cndmask_b32_e64 v20, v20, v6, s0
	v_cmp_eq_u32_e64 s0, 3, v1
	v_mov_b32_e32 v6, v0
	v_lshrrev_b32_e32 v0, 2, v13
	s_delay_alu instid0(VALU_DEP_4) | instskip(NEXT) | instid1(VALU_DEP_4)
	v_and_b32_e32 v1, 7, v20
	s_or_b32 vcc_lo, s0, vcc_lo
	s_delay_alu instid0(VALU_DEP_3) | instskip(SKIP_4) | instid1(VALU_DEP_3)
	v_lshlrev_b64_e32 v[5:6], 2, v[5:6]
	s_wait_alu 0xfffe
	v_add_co_ci_u32_e32 v0, vcc_lo, 0, v0, vcc_lo
	v_cmp_ne_u32_e32 vcc_lo, 0, v18
	v_cmp_eq_u32_e64 s0, 3, v1
	v_cndmask_b32_e64 v13, 0x7c00, v0, s1
	s_wait_alu 0xfffd
	v_cndmask_b32_e64 v2, 0, 1, vcc_lo
	v_cmp_lt_i32_e32 vcc_lo, 5, v1
	v_lshrrev_b32_e32 v1, 2, v20
	s_delay_alu instid0(VALU_DEP_3) | instskip(SKIP_2) | instid1(VALU_DEP_2)
	v_lshl_or_b32 v2, v2, 9, 0x7c00
	s_or_b32 vcc_lo, s0, vcc_lo
	s_wait_alu 0xfffe
	v_add_co_ci_u32_e32 v18, vcc_lo, 0, v1, vcc_lo
	v_cmp_ne_u32_e32 vcc_lo, 0, v21
	v_mad_co_u64_u32 v[0:1], null, 0x1180, s4, v[9:10]
	s_wait_alu 0xfffd
	v_cndmask_b32_e64 v20, 0, 1, vcc_lo
	v_cmp_gt_i32_e32 vcc_lo, 31, v16
	s_delay_alu instid0(VALU_DEP_2)
	v_lshl_or_b32 v20, v20, 9, 0x7c00
	s_wait_alu 0xfffd
	v_cndmask_b32_e32 v18, 0x7c00, v18, vcc_lo
	v_cmp_eq_u32_e32 vcc_lo, 0x40f, v15
	s_wait_alu 0xfffd
	v_cndmask_b32_e32 v2, v13, v2, vcc_lo
	v_cmp_eq_u32_e32 vcc_lo, 0x40f, v16
	s_delay_alu instid0(VALU_DEP_2)
	v_and_or_b32 v8, 0x8000, v8, v2
	s_wait_alu 0xfffd
	v_cndmask_b32_e32 v13, v18, v20, vcc_lo
	v_mad_co_u64_u32 v[1:2], null, 0x1180, s5, v[1:2]
	v_add_co_u32 v2, vcc_lo, v3, v5
	v_and_b32_e32 v8, 0xffff, v8
	s_delay_alu instid0(VALU_DEP_4) | instskip(SKIP_2) | instid1(VALU_DEP_2)
	v_and_or_b32 v13, 0x8000, v14, v13
	s_wait_alu 0xfffd
	v_add_co_ci_u32_e32 v3, vcc_lo, v4, v6, vcc_lo
	v_lshl_or_b32 v4, v13, 16, v8
	global_store_b32 v[9:10], v19, off
	s_clause 0x1
	global_store_b32 v[11:12], v17, off
	global_store_b32 v[2:3], v7, off
	;; [unrolled: 1-line block ×3, first 2 shown]
.LBB0_10:
	s_nop 0
	s_sendmsg sendmsg(MSG_DEALLOC_VGPRS)
	s_endpgm
	.section	.rodata,"a",@progbits
	.p2align	6, 0x0
	.amdhsa_kernel bluestein_single_back_len2016_dim1_half_op_CI_CI
		.amdhsa_group_segment_fixed_size 16128
		.amdhsa_private_segment_fixed_size 0
		.amdhsa_kernarg_size 104
		.amdhsa_user_sgpr_count 2
		.amdhsa_user_sgpr_dispatch_ptr 0
		.amdhsa_user_sgpr_queue_ptr 0
		.amdhsa_user_sgpr_kernarg_segment_ptr 1
		.amdhsa_user_sgpr_dispatch_id 0
		.amdhsa_user_sgpr_private_segment_size 0
		.amdhsa_wavefront_size32 1
		.amdhsa_uses_dynamic_stack 0
		.amdhsa_enable_private_segment 0
		.amdhsa_system_sgpr_workgroup_id_x 1
		.amdhsa_system_sgpr_workgroup_id_y 0
		.amdhsa_system_sgpr_workgroup_id_z 0
		.amdhsa_system_sgpr_workgroup_info 0
		.amdhsa_system_vgpr_workitem_id 0
		.amdhsa_next_free_vgpr 255
		.amdhsa_next_free_sgpr 20
		.amdhsa_reserve_vcc 1
		.amdhsa_float_round_mode_32 0
		.amdhsa_float_round_mode_16_64 0
		.amdhsa_float_denorm_mode_32 3
		.amdhsa_float_denorm_mode_16_64 3
		.amdhsa_fp16_overflow 0
		.amdhsa_workgroup_processor_mode 1
		.amdhsa_memory_ordered 1
		.amdhsa_forward_progress 0
		.amdhsa_round_robin_scheduling 0
		.amdhsa_exception_fp_ieee_invalid_op 0
		.amdhsa_exception_fp_denorm_src 0
		.amdhsa_exception_fp_ieee_div_zero 0
		.amdhsa_exception_fp_ieee_overflow 0
		.amdhsa_exception_fp_ieee_underflow 0
		.amdhsa_exception_fp_ieee_inexact 0
		.amdhsa_exception_int_div_zero 0
	.end_amdhsa_kernel
	.text
.Lfunc_end0:
	.size	bluestein_single_back_len2016_dim1_half_op_CI_CI, .Lfunc_end0-bluestein_single_back_len2016_dim1_half_op_CI_CI
                                        ; -- End function
	.section	.AMDGPU.csdata,"",@progbits
; Kernel info:
; codeLenInByte = 37712
; NumSgprs: 22
; NumVgprs: 255
; ScratchSize: 0
; MemoryBound: 0
; FloatMode: 240
; IeeeMode: 1
; LDSByteSize: 16128 bytes/workgroup (compile time only)
; SGPRBlocks: 2
; VGPRBlocks: 31
; NumSGPRsForWavesPerEU: 22
; NumVGPRsForWavesPerEU: 255
; Occupancy: 5
; WaveLimiterHint : 1
; COMPUTE_PGM_RSRC2:SCRATCH_EN: 0
; COMPUTE_PGM_RSRC2:USER_SGPR: 2
; COMPUTE_PGM_RSRC2:TRAP_HANDLER: 0
; COMPUTE_PGM_RSRC2:TGID_X_EN: 1
; COMPUTE_PGM_RSRC2:TGID_Y_EN: 0
; COMPUTE_PGM_RSRC2:TGID_Z_EN: 0
; COMPUTE_PGM_RSRC2:TIDIG_COMP_CNT: 0
	.text
	.p2alignl 7, 3214868480
	.fill 96, 4, 3214868480
	.type	__hip_cuid_20e2b48f80e62855,@object ; @__hip_cuid_20e2b48f80e62855
	.section	.bss,"aw",@nobits
	.globl	__hip_cuid_20e2b48f80e62855
__hip_cuid_20e2b48f80e62855:
	.byte	0                               ; 0x0
	.size	__hip_cuid_20e2b48f80e62855, 1

	.ident	"AMD clang version 19.0.0git (https://github.com/RadeonOpenCompute/llvm-project roc-6.4.0 25133 c7fe45cf4b819c5991fe208aaa96edf142730f1d)"
	.section	".note.GNU-stack","",@progbits
	.addrsig
	.addrsig_sym __hip_cuid_20e2b48f80e62855
	.amdgpu_metadata
---
amdhsa.kernels:
  - .args:
      - .actual_access:  read_only
        .address_space:  global
        .offset:         0
        .size:           8
        .value_kind:     global_buffer
      - .actual_access:  read_only
        .address_space:  global
        .offset:         8
        .size:           8
        .value_kind:     global_buffer
      - .actual_access:  read_only
        .address_space:  global
        .offset:         16
        .size:           8
        .value_kind:     global_buffer
      - .actual_access:  read_only
        .address_space:  global
        .offset:         24
        .size:           8
        .value_kind:     global_buffer
      - .actual_access:  read_only
        .address_space:  global
        .offset:         32
        .size:           8
        .value_kind:     global_buffer
      - .offset:         40
        .size:           8
        .value_kind:     by_value
      - .address_space:  global
        .offset:         48
        .size:           8
        .value_kind:     global_buffer
      - .address_space:  global
        .offset:         56
        .size:           8
        .value_kind:     global_buffer
      - .address_space:  global
        .offset:         64
        .size:           8
        .value_kind:     global_buffer
      - .address_space:  global
        .offset:         72
        .size:           8
        .value_kind:     global_buffer
      - .offset:         80
        .size:           4
        .value_kind:     by_value
      - .address_space:  global
        .offset:         88
        .size:           8
        .value_kind:     global_buffer
      - .address_space:  global
        .offset:         96
        .size:           8
        .value_kind:     global_buffer
    .group_segment_fixed_size: 16128
    .kernarg_segment_align: 8
    .kernarg_segment_size: 104
    .language:       OpenCL C
    .language_version:
      - 2
      - 0
    .max_flat_workgroup_size: 224
    .name:           bluestein_single_back_len2016_dim1_half_op_CI_CI
    .private_segment_fixed_size: 0
    .sgpr_count:     22
    .sgpr_spill_count: 0
    .symbol:         bluestein_single_back_len2016_dim1_half_op_CI_CI.kd
    .uniform_work_group_size: 1
    .uses_dynamic_stack: false
    .vgpr_count:     255
    .vgpr_spill_count: 0
    .wavefront_size: 32
    .workgroup_processor_mode: 1
amdhsa.target:   amdgcn-amd-amdhsa--gfx1201
amdhsa.version:
  - 1
  - 2
...

	.end_amdgpu_metadata
